;; amdgpu-corpus repo=ROCm/rocFFT kind=compiled arch=gfx1030 opt=O3
	.text
	.amdgcn_target "amdgcn-amd-amdhsa--gfx1030"
	.amdhsa_code_object_version 6
	.protected	bluestein_single_fwd_len3888_dim1_half_op_CI_CI ; -- Begin function bluestein_single_fwd_len3888_dim1_half_op_CI_CI
	.globl	bluestein_single_fwd_len3888_dim1_half_op_CI_CI
	.p2align	8
	.type	bluestein_single_fwd_len3888_dim1_half_op_CI_CI,@function
bluestein_single_fwd_len3888_dim1_half_op_CI_CI: ; @bluestein_single_fwd_len3888_dim1_half_op_CI_CI
; %bb.0:
	s_load_dwordx4 s[0:3], s[4:5], 0x28
	v_mul_u32_u24_e32 v1, 0x195, v0
	v_mov_b32_e32 v2, 0
	v_lshrrev_b32_e32 v3, 17, v1
	v_add_nc_u32_e32 v1, s6, v3
	s_waitcnt lgkmcnt(0)
	v_cmp_gt_u64_e32 vcc_lo, s[0:1], v[1:2]
	s_and_saveexec_b32 s0, vcc_lo
	s_cbranch_execz .LBB0_15
; %bb.1:
	s_clause 0x1
	s_load_dwordx2 s[14:15], s[4:5], 0x0
	s_load_dwordx2 s[12:13], s[4:5], 0x38
	v_mul_lo_u16 v2, 0x144, v3
	v_sub_nc_u16 v0, v0, v2
	v_and_b32_e32 v58, 0xffff, v0
	v_cmp_gt_u16_e32 vcc_lo, 0xf3, v0
	v_lshlrev_b32_e32 v0, 2, v58
	s_and_saveexec_b32 s1, vcc_lo
	s_cbranch_execz .LBB0_3
; %bb.2:
	s_load_dwordx2 s[6:7], s[4:5], 0x18
	s_waitcnt lgkmcnt(0)
	v_add_co_u32 v20, s0, s14, v0
	v_add_co_ci_u32_e64 v21, null, s15, 0, s0
	v_add_nc_u32_e32 v39, 0x25e0, v0
	v_add_co_u32 v6, s0, 0x800, v20
	v_add_co_ci_u32_e64 v7, s0, 0, v21, s0
	v_add_nc_u32_e32 v43, 0x2d80, v0
	s_load_dwordx4 s[8:11], s[6:7], 0x0
	s_clause 0x2
	global_load_dword v22, v0, s[14:15]
	global_load_dword v23, v0, s[14:15] offset:972
	global_load_dword v24, v0, s[14:15] offset:1944
	s_waitcnt lgkmcnt(0)
	v_mad_u64_u32 v[2:3], null, s10, v1, 0
	v_mad_u64_u32 v[4:5], null, s8, v58, 0
	s_mul_i32 s6, s9, 0x3cc
	s_mul_hi_u32 s7, s8, 0x3cc
	s_add_i32 s7, s7, s6
	v_mad_u64_u32 v[8:9], null, s11, v1, v[3:4]
	v_mad_u64_u32 v[11:12], null, s9, v58, v[5:6]
	v_add_co_u32 v9, s0, 0x1000, v20
	v_add_co_ci_u32_e64 v10, s0, 0, v21, s0
	v_mov_b32_e32 v3, v8
	v_add_co_u32 v12, s0, 0x1800, v20
	v_add_co_ci_u32_e64 v13, s0, 0, v21, s0
	v_add_co_u32 v14, s0, 0x2000, v20
	v_mov_b32_e32 v5, v11
	v_lshlrev_b64 v[2:3], 2, v[2:3]
	v_add_co_ci_u32_e64 v15, s0, 0, v21, s0
	v_add_co_u32 v16, s0, 0x2800, v20
	v_add_co_ci_u32_e64 v17, s0, 0, v21, s0
	v_lshlrev_b64 v[4:5], 2, v[4:5]
	v_add_co_u32 v2, s0, s2, v2
	v_add_co_ci_u32_e64 v3, s0, s3, v3, s0
	s_mul_i32 s2, s8, 0x3cc
	v_add_co_u32 v2, s0, v2, v4
	v_add_co_ci_u32_e64 v3, s0, v3, v5, s0
	v_add_co_u32 v4, s0, v2, s2
	v_add_co_ci_u32_e64 v5, s0, s7, v3, s0
	global_load_dword v8, v[2:3], off
	v_add_co_u32 v2, s0, v4, s2
	v_add_co_ci_u32_e64 v3, s0, s7, v5, s0
	v_add_co_u32 v18, s0, 0x3000, v20
	v_add_co_ci_u32_e64 v19, s0, 0, v21, s0
	s_clause 0x1
	global_load_dword v11, v[4:5], off
	global_load_dword v25, v[2:3], off
	v_add_co_u32 v2, s0, v2, s2
	v_add_co_ci_u32_e64 v3, s0, s7, v3, s0
	s_clause 0x1
	global_load_dword v26, v[6:7], off offset:868
	global_load_dword v27, v[6:7], off offset:1840
	v_add_co_u32 v4, s0, v2, s2
	v_add_co_ci_u32_e64 v5, s0, s7, v3, s0
	s_clause 0x1
	global_load_dword v28, v[2:3], off
	global_load_dword v29, v[4:5], off
	v_add_co_u32 v2, s0, v4, s2
	v_add_co_ci_u32_e64 v3, s0, s7, v5, s0
	v_add_co_u32 v4, s0, v2, s2
	v_add_co_ci_u32_e64 v5, s0, s7, v3, s0
	s_clause 0x1
	global_load_dword v30, v[9:10], off offset:764
	global_load_dword v9, v[9:10], off offset:1736
	global_load_dword v10, v[2:3], off
	s_clause 0x1
	global_load_dword v31, v[12:13], off offset:660
	global_load_dword v12, v[12:13], off offset:1632
	global_load_dword v13, v[4:5], off
	v_add_co_u32 v2, s0, v4, s2
	v_add_co_ci_u32_e64 v3, s0, s7, v5, s0
	s_clause 0x1
	global_load_dword v32, v[14:15], off offset:556
	global_load_dword v14, v[14:15], off offset:1528
	v_add_co_u32 v4, s0, v2, s2
	v_add_co_ci_u32_e64 v5, s0, s7, v3, s0
	global_load_dword v15, v[2:3], off
	v_add_co_u32 v2, s0, v4, s2
	v_add_co_ci_u32_e64 v3, s0, s7, v5, s0
	global_load_dword v33, v[4:5], off
	v_add_co_u32 v4, s0, v2, s2
	v_add_co_ci_u32_e64 v5, s0, s7, v3, s0
	global_load_dword v34, v[2:3], off
	v_add_co_u32 v2, s0, v4, s2
	v_add_co_ci_u32_e64 v3, s0, s7, v5, s0
	global_load_dword v35, v[4:5], off
	v_add_co_u32 v4, s0, v2, s2
	v_add_co_ci_u32_e64 v5, s0, s7, v3, s0
	global_load_dword v37, v[2:3], off
	v_add_co_u32 v6, s0, v4, s2
	v_add_co_ci_u32_e64 v7, s0, s7, v5, s0
	global_load_dword v36, v[16:17], off offset:452
	v_add_co_u32 v2, s0, v6, s2
	v_add_co_ci_u32_e64 v3, s0, s7, v7, s0
	global_load_dword v38, v[4:5], off
	s_clause 0x1
	global_load_dword v16, v[16:17], off offset:1424
	global_load_dword v17, v[18:19], off offset:348
	global_load_dword v6, v[6:7], off
	global_load_dword v7, v[2:3], off
	v_add_co_u32 v2, s0, v2, s2
	v_add_co_ci_u32_e64 v3, s0, s7, v3, s0
	v_add_co_u32 v4, s0, 0x3800, v20
	v_add_co_ci_u32_e64 v5, s0, 0, v21, s0
	global_load_dword v2, v[2:3], off
	s_clause 0x1
	global_load_dword v3, v[18:19], off offset:1320
	global_load_dword v4, v[4:5], off offset:244
	v_add_nc_u32_e32 v5, 0x780, v0
	v_add_nc_u32_e32 v18, 0xf00, v0
	v_add_nc_u32_e32 v20, 0x16c0, v0
	v_add_nc_u32_e32 v21, 0x1e40, v0
	s_waitcnt vmcnt(28)
	v_lshrrev_b32_e32 v19, 16, v8
	v_mul_f16_sdwa v40, v22, v8 dst_sel:DWORD dst_unused:UNUSED_PAD src0_sel:WORD_1 src1_sel:DWORD
	v_mul_f16_sdwa v41, v22, v19 dst_sel:DWORD dst_unused:UNUSED_PAD src0_sel:WORD_1 src1_sel:DWORD
	v_fma_f16 v19, v22, v19, -v40
	s_waitcnt vmcnt(27)
	v_lshrrev_b32_e32 v42, 16, v11
	v_mul_f16_sdwa v44, v23, v11 dst_sel:DWORD dst_unused:UNUSED_PAD src0_sel:WORD_1 src1_sel:DWORD
	v_fmac_f16_e32 v41, v22, v8
	s_waitcnt vmcnt(26)
	v_lshrrev_b32_e32 v22, 16, v25
	v_mul_f16_sdwa v8, v23, v42 dst_sel:DWORD dst_unused:UNUSED_PAD src0_sel:WORD_1 src1_sel:DWORD
	v_fma_f16 v40, v23, v42, -v44
	v_mul_f16_sdwa v42, v24, v25 dst_sel:DWORD dst_unused:UNUSED_PAD src0_sel:WORD_1 src1_sel:DWORD
	v_pack_b32_f16 v19, v41, v19
	v_fmac_f16_e32 v8, v23, v11
	v_mul_f16_sdwa v11, v24, v22 dst_sel:DWORD dst_unused:UNUSED_PAD src0_sel:WORD_1 src1_sel:DWORD
	s_waitcnt vmcnt(23)
	v_lshrrev_b32_e32 v23, 16, v28
	v_mul_f16_sdwa v41, v26, v28 dst_sel:DWORD dst_unused:UNUSED_PAD src0_sel:WORD_1 src1_sel:DWORD
	v_fma_f16 v22, v24, v22, -v42
	v_pack_b32_f16 v8, v8, v40
	v_fmac_f16_e32 v11, v24, v25
	v_mul_f16_sdwa v24, v26, v23 dst_sel:DWORD dst_unused:UNUSED_PAD src0_sel:WORD_1 src1_sel:DWORD
	s_waitcnt vmcnt(22)
	v_lshrrev_b32_e32 v25, 16, v29
	v_fma_f16 v23, v26, v23, -v41
	v_mul_f16_sdwa v40, v27, v29 dst_sel:DWORD dst_unused:UNUSED_PAD src0_sel:WORD_1 src1_sel:DWORD
	ds_write2_b32 v0, v19, v8 offset1:243
	v_pack_b32_f16 v8, v11, v22
	v_fmac_f16_e32 v24, v26, v28
	v_mul_f16_sdwa v11, v27, v25 dst_sel:DWORD dst_unused:UNUSED_PAD src0_sel:WORD_1 src1_sel:DWORD
	s_waitcnt vmcnt(19)
	v_lshrrev_b32_e32 v19, 16, v10
	v_mul_f16_sdwa v22, v30, v10 dst_sel:DWORD dst_unused:UNUSED_PAD src0_sel:WORD_1 src1_sel:DWORD
	v_fma_f16 v25, v27, v25, -v40
	v_pack_b32_f16 v23, v24, v23
	v_fmac_f16_e32 v11, v27, v29
	v_mul_f16_sdwa v24, v30, v19 dst_sel:DWORD dst_unused:UNUSED_PAD src0_sel:WORD_1 src1_sel:DWORD
	v_fma_f16 v19, v30, v19, -v22
	s_waitcnt vmcnt(16)
	v_lshrrev_b32_e32 v22, 16, v13
	v_mul_f16_sdwa v26, v9, v13 dst_sel:DWORD dst_unused:UNUSED_PAD src0_sel:WORD_1 src1_sel:DWORD
	ds_write2_b32 v5, v8, v23 offset0:6 offset1:249
	v_pack_b32_f16 v5, v11, v25
	v_fmac_f16_e32 v24, v30, v10
	v_mul_f16_sdwa v8, v9, v22 dst_sel:DWORD dst_unused:UNUSED_PAD src0_sel:WORD_1 src1_sel:DWORD
	s_waitcnt vmcnt(13)
	v_lshrrev_b32_e32 v10, 16, v15
	v_mul_f16_sdwa v11, v31, v15 dst_sel:DWORD dst_unused:UNUSED_PAD src0_sel:WORD_1 src1_sel:DWORD
	v_fma_f16 v22, v9, v22, -v26
	v_pack_b32_f16 v19, v24, v19
	v_fmac_f16_e32 v8, v9, v13
	v_mul_f16_sdwa v9, v31, v10 dst_sel:DWORD dst_unused:UNUSED_PAD src0_sel:WORD_1 src1_sel:DWORD
	v_fma_f16 v10, v31, v10, -v11
	s_waitcnt vmcnt(12)
	v_lshrrev_b32_e32 v11, 16, v33
	v_mul_f16_sdwa v13, v12, v33 dst_sel:DWORD dst_unused:UNUSED_PAD src0_sel:WORD_1 src1_sel:DWORD
	ds_write2_b32 v18, v5, v19 offset0:12 offset1:255
	v_pack_b32_f16 v5, v8, v22
	v_fmac_f16_e32 v9, v31, v15
	v_mul_f16_sdwa v8, v12, v11 dst_sel:DWORD dst_unused:UNUSED_PAD src0_sel:WORD_1 src1_sel:DWORD
	s_waitcnt vmcnt(11)
	v_lshrrev_b32_e32 v15, 16, v34
	v_fma_f16 v11, v12, v11, -v13
	v_mul_f16_sdwa v13, v32, v34 dst_sel:DWORD dst_unused:UNUSED_PAD src0_sel:WORD_1 src1_sel:DWORD
	v_pack_b32_f16 v9, v9, v10
	v_fmac_f16_e32 v8, v12, v33
	v_mul_f16_sdwa v10, v32, v15 dst_sel:DWORD dst_unused:UNUSED_PAD src0_sel:WORD_1 src1_sel:DWORD
	s_waitcnt vmcnt(10)
	v_lshrrev_b32_e32 v12, 16, v35
	v_mul_f16_sdwa v18, v14, v35 dst_sel:DWORD dst_unused:UNUSED_PAD src0_sel:WORD_1 src1_sel:DWORD
	v_fma_f16 v13, v32, v15, -v13
	v_pack_b32_f16 v8, v8, v11
	v_fmac_f16_e32 v10, v32, v34
	v_mul_f16_sdwa v11, v14, v12 dst_sel:DWORD dst_unused:UNUSED_PAD src0_sel:WORD_1 src1_sel:DWORD
	v_fma_f16 v12, v14, v12, -v18
	s_waitcnt vmcnt(9)
	v_lshrrev_b32_e32 v15, 16, v37
	s_waitcnt vmcnt(8)
	v_mul_f16_sdwa v18, v36, v37 dst_sel:DWORD dst_unused:UNUSED_PAD src0_sel:WORD_1 src1_sel:DWORD
	v_pack_b32_f16 v10, v10, v13
	v_fmac_f16_e32 v11, v14, v35
	s_waitcnt vmcnt(7)
	v_lshrrev_b32_e32 v13, 16, v38
	v_mul_f16_sdwa v14, v36, v15 dst_sel:DWORD dst_unused:UNUSED_PAD src0_sel:WORD_1 src1_sel:DWORD
	v_fma_f16 v15, v36, v15, -v18
	s_waitcnt vmcnt(6)
	v_mul_f16_sdwa v18, v16, v38 dst_sel:DWORD dst_unused:UNUSED_PAD src0_sel:WORD_1 src1_sel:DWORD
	v_pack_b32_f16 v11, v11, v12
	v_mul_f16_sdwa v12, v16, v13 dst_sel:DWORD dst_unused:UNUSED_PAD src0_sel:WORD_1 src1_sel:DWORD
	s_waitcnt vmcnt(4)
	v_lshrrev_b32_e32 v19, 16, v6
	s_waitcnt vmcnt(2)
	v_lshrrev_b32_e32 v23, 16, v2
	v_fma_f16 v13, v16, v13, -v18
	v_mul_f16_sdwa v18, v17, v6 dst_sel:DWORD dst_unused:UNUSED_PAD src0_sel:WORD_1 src1_sel:DWORD
	v_fmac_f16_e32 v12, v16, v38
	v_lshrrev_b32_e32 v16, 16, v7
	v_mul_f16_sdwa v22, v17, v19 dst_sel:DWORD dst_unused:UNUSED_PAD src0_sel:WORD_1 src1_sel:DWORD
	s_waitcnt vmcnt(0)
	v_mul_f16_sdwa v25, v4, v2 dst_sel:DWORD dst_unused:UNUSED_PAD src0_sel:WORD_1 src1_sel:DWORD
	v_fma_f16 v18, v17, v19, -v18
	v_mul_f16_sdwa v19, v3, v7 dst_sel:DWORD dst_unused:UNUSED_PAD src0_sel:WORD_1 src1_sel:DWORD
	v_mul_f16_sdwa v24, v3, v16 dst_sel:DWORD dst_unused:UNUSED_PAD src0_sel:WORD_1 src1_sel:DWORD
	;; [unrolled: 1-line block ×3, first 2 shown]
	v_fmac_f16_e32 v14, v36, v37
	v_fmac_f16_e32 v22, v17, v6
	v_fma_f16 v6, v3, v16, -v19
	v_fmac_f16_e32 v24, v3, v7
	v_fma_f16 v3, v4, v23, -v25
	v_fmac_f16_e32 v26, v4, v2
	v_pack_b32_f16 v2, v14, v15
	v_pack_b32_f16 v4, v12, v13
	v_pack_b32_f16 v7, v22, v18
	v_pack_b32_f16 v6, v24, v6
	v_pack_b32_f16 v3, v26, v3
	v_add_nc_u32_e32 v12, 0x3500, v0
	ds_write2_b32 v20, v5, v9 offset0:2 offset1:245
	ds_write2_b32 v21, v8, v10 offset0:8 offset1:251
	;; [unrolled: 1-line block ×5, first 2 shown]
.LBB0_3:
	s_or_b32 exec_lo, exec_lo, s1
	s_clause 0x1
	s_load_dwordx2 s[0:1], s[4:5], 0x20
	s_load_dwordx2 s[2:3], s[4:5], 0x8
	s_waitcnt lgkmcnt(0)
	s_barrier
	buffer_gl0_inv
                                        ; implicit-def: $vgpr2
                                        ; implicit-def: $vgpr16
                                        ; implicit-def: $vgpr6
                                        ; implicit-def: $vgpr14
                                        ; implicit-def: $vgpr4
                                        ; implicit-def: $vgpr12
                                        ; implicit-def: $vgpr8
                                        ; implicit-def: $vgpr10
	s_and_saveexec_b32 s4, vcc_lo
	s_cbranch_execz .LBB0_5
; %bb.4:
	v_add_nc_u32_e32 v4, 0x780, v0
	v_add_nc_u32_e32 v8, 0x16c0, v0
	v_add_nc_u32_e32 v6, 0xf00, v0
	v_add_nc_u32_e32 v10, 0x1e40, v0
	v_add_nc_u32_e32 v11, 0x25e0, v0
	v_add_nc_u32_e32 v14, 0x2d80, v0
	v_add_nc_u32_e32 v18, 0x3500, v0
	ds_read2_b32 v[2:3], v0 offset1:243
	ds_read2_b32 v[4:5], v4 offset0:6 offset1:249
	ds_read2_b32 v[6:7], v6 offset0:12 offset1:255
	;; [unrolled: 1-line block ×7, first 2 shown]
.LBB0_5:
	s_or_b32 exec_lo, exec_lo, s4
	s_waitcnt lgkmcnt(3)
	v_pk_add_f16 v26, v2, v16 neg_lo:[0,1] neg_hi:[0,1]
	s_waitcnt lgkmcnt(2)
	v_pk_add_f16 v12, v4, v12 neg_lo:[0,1] neg_hi:[0,1]
	;; [unrolled: 2-line block ×4, first 2 shown]
	v_pk_add_f16 v28, v3, v17 neg_lo:[0,1] neg_hi:[0,1]
	v_lshrrev_b32_e32 v14, 16, v26
	v_pk_add_f16 v29, v7, v15 neg_lo:[0,1] neg_hi:[0,1]
	v_pk_add_f16 v13, v5, v13 neg_lo:[0,1] neg_hi:[0,1]
	v_lshrrev_b32_e32 v16, 16, v12
	v_pk_add_f16 v11, v9, v11 neg_lo:[0,1] neg_hi:[0,1]
	v_sub_f16_sdwa v21, v26, v27 dst_sel:DWORD dst_unused:UNUSED_PAD src0_sel:DWORD src1_sel:WORD_1
	v_add_f16_e32 v20, v27, v14
	v_sub_f16_sdwa v30, v12, v10 dst_sel:DWORD dst_unused:UNUSED_PAD src0_sel:DWORD src1_sel:WORD_1
	v_add_f16_e32 v31, v10, v16
	v_lshrrev_b32_e32 v18, 16, v28
	v_sub_f16_sdwa v22, v28, v29 dst_sel:DWORD dst_unused:UNUSED_PAD src0_sel:DWORD src1_sel:WORD_1
	v_lshrrev_b32_e32 v25, 16, v13
	v_sub_f16_sdwa v34, v13, v11 dst_sel:DWORD dst_unused:UNUSED_PAD src0_sel:DWORD src1_sel:WORD_1
	v_fma_f16 v15, v26, 2.0, -v21
	v_fma_f16 v14, v14, 2.0, -v20
	;; [unrolled: 1-line block ×4, first 2 shown]
	v_add_f16_e32 v23, v29, v18
	v_fma_f16 v16, v28, 2.0, -v22
	v_add_f16_e32 v35, v11, v25
	v_fma_f16 v36, v13, 2.0, -v34
	v_pk_fma_f16 v2, v2, 2.0, v26 op_sel_hi:[1,0,1] neg_lo:[0,0,1] neg_hi:[0,0,1]
	v_pk_fma_f16 v6, v6, 2.0, v27 op_sel_hi:[1,0,1] neg_lo:[0,0,1] neg_hi:[0,0,1]
	;; [unrolled: 1-line block ×5, first 2 shown]
	v_fmamk_f16 v19, v24, 0xb9a8, v15
	v_fmamk_f16 v17, v32, 0xb9a8, v14
	v_fma_f16 v18, v18, 2.0, -v23
	v_fma_f16 v33, v25, 2.0, -v35
	v_pk_fma_f16 v10, v8, 2.0, v10 op_sel_hi:[1,0,1] neg_lo:[0,0,1] neg_hi:[0,0,1]
	v_pk_fma_f16 v5, v5, 2.0, v13 op_sel_hi:[1,0,1] neg_lo:[0,0,1] neg_hi:[0,0,1]
	v_pk_add_f16 v8, v2, v6 neg_lo:[0,1] neg_hi:[0,1]
	v_pk_fma_f16 v6, v9, 2.0, v11 op_sel_hi:[1,0,1] neg_lo:[0,0,1] neg_hi:[0,0,1]
	v_pk_add_f16 v27, v12, v3 neg_lo:[0,1] neg_hi:[0,1]
	v_fmamk_f16 v9, v36, 0xb9a8, v16
	v_fmac_f16_e32 v19, 0xb9a8, v32
	v_fmac_f16_e32 v17, 0x39a8, v24
	v_fmamk_f16 v25, v30, 0x39a8, v21
	v_fmamk_f16 v24, v31, 0x39a8, v20
	v_pk_add_f16 v7, v4, v10 neg_lo:[0,1] neg_hi:[0,1]
	v_pk_add_f16 v10, v5, v6 neg_lo:[0,1] neg_hi:[0,1]
	v_lshrrev_b32_e32 v6, 16, v8
	v_fmamk_f16 v26, v33, 0xb9a8, v18
	v_fmac_f16_e32 v9, 0xb9a8, v33
	v_lshrrev_b32_e32 v29, 16, v27
	v_fmamk_f16 v33, v34, 0x39a8, v22
	v_fmamk_f16 v32, v35, 0x39a8, v23
	v_fmac_f16_e32 v25, 0xb9a8, v31
	v_pk_fma_f16 v3, v2, 2.0, v8 op_sel_hi:[1,0,1] neg_lo:[0,0,1] neg_hi:[0,0,1]
	v_pk_fma_f16 v2, v4, 2.0, v7 op_sel_hi:[1,0,1] neg_lo:[0,0,1] neg_hi:[0,0,1]
	v_fmac_f16_e32 v24, 0x39a8, v30
	v_pk_fma_f16 v4, v12, 2.0, v27 op_sel_hi:[1,0,1] neg_lo:[0,0,1] neg_hi:[0,0,1]
	v_pk_fma_f16 v5, v5, 2.0, v10 op_sel_hi:[1,0,1] neg_lo:[0,0,1] neg_hi:[0,0,1]
	v_sub_f16_sdwa v28, v8, v7 dst_sel:DWORD dst_unused:UNUSED_PAD src0_sel:DWORD src1_sel:WORD_1
	v_add_f16_e32 v7, v7, v6
	v_fmac_f16_e32 v26, 0x39a8, v36
	v_sub_f16_sdwa v31, v27, v10 dst_sel:DWORD dst_unused:UNUSED_PAD src0_sel:DWORD src1_sel:WORD_1
	v_add_f16_e32 v30, v10, v29
	v_fmac_f16_e32 v33, 0xb9a8, v35
	v_fmac_f16_e32 v32, 0x39a8, v34
	v_pk_add_f16 v2, v3, v2 neg_lo:[0,1] neg_hi:[0,1]
	v_pk_add_f16 v5, v4, v5 neg_lo:[0,1] neg_hi:[0,1]
	v_fmamk_f16 v11, v9, 0x361f, v19
	v_fmamk_f16 v65, v26, 0x361f, v17
	;; [unrolled: 1-line block ×6, first 2 shown]
	v_pk_add_f16 v10, v2, v5 op_sel:[0,1] op_sel_hi:[1,0] neg_lo:[0,1] neg_hi:[0,1]
	v_pk_add_f16 v68, v2, v5 op_sel:[0,1] op_sel_hi:[1,0]
	v_fmac_f16_e32 v11, 0xbb64, v26
	v_fmac_f16_e32 v65, 0x3b64, v9
	;; [unrolled: 1-line block ×6, first 2 shown]
	v_lshlrev_b16 v60, 4, v58
	s_barrier
	buffer_gl0_inv
	s_and_saveexec_b32 s4, vcc_lo
	s_cbranch_execz .LBB0_7
; %bb.6:
	v_fma_f16 v34, v21, 2.0, -v25
	v_fma_f16 v22, v22, 2.0, -v33
	;; [unrolled: 1-line block ×6, first 2 shown]
	v_fmamk_f16 v36, v22, 0xb61f, v34
	v_fma_f16 v8, v8, 2.0, -v28
	v_fma_f16 v24, v27, 2.0, -v31
	;; [unrolled: 1-line block ×4, first 2 shown]
	v_fmac_f16_e32 v36, 0xbb64, v23
	v_fmamk_f16 v23, v23, 0xb61f, v20
	v_fma_f16 v9, v16, 2.0, -v9
	v_fma_f16 v16, v18, 2.0, -v26
	;; [unrolled: 1-line block ×4, first 2 shown]
	v_fmac_f16_e32 v23, 0x3b64, v22
	v_fma_f16 v31, v7, 2.0, -v67
	v_fmamk_f16 v32, v24, 0xb9a8, v8
	v_fma_f16 v29, v19, 2.0, -v11
	v_fmamk_f16 v18, v9, 0xbb64, v15
	;; [unrolled: 2-line block ×3, first 2 shown]
	v_fmamk_f16 v20, v25, 0xb9a8, v6
	v_fma_f16 v30, v17, 2.0, -v65
	v_fmac_f16_e32 v32, 0xb9a8, v25
	v_pk_fma_f16 v17, v3, 2.0, v2 op_sel_hi:[1,0,1] neg_lo:[0,0,1] neg_hi:[0,0,1]
	v_pk_fma_f16 v3, v4, 2.0, v5 op_sel_hi:[1,0,1] neg_lo:[0,0,1] neg_hi:[0,0,1]
	v_fmac_f16_e32 v18, 0xb61f, v16
	v_fmac_f16_e32 v19, 0x361f, v9
	;; [unrolled: 1-line block ×3, first 2 shown]
	v_fma_f16 v27, v28, 2.0, -v12
	v_fma_f16 v28, v34, 2.0, -v36
	;; [unrolled: 1-line block ×3, first 2 shown]
	v_mov_b32_e32 v4, 2
	v_pk_add_f16 v3, v17, v3 neg_lo:[0,1] neg_hi:[0,1]
	v_fma_f16 v5, v15, 2.0, -v18
	v_fma_f16 v9, v14, 2.0, -v19
	;; [unrolled: 1-line block ×3, first 2 shown]
	v_bfi_b32 v21, 0xffff, v10, v68
	v_lshlrev_b32_sdwa v34, v4, v60 dst_sel:DWORD dst_unused:UNUSED_PAD src0_sel:DWORD src1_sel:WORD_0
	v_pk_fma_f16 v14, v17, 2.0, v3 op_sel_hi:[1,0,1] neg_lo:[0,0,1] neg_hi:[0,0,1]
	v_pack_b32_f16 v17, v28, v7
	v_pack_b32_f16 v15, v5, v9
	;; [unrolled: 1-line block ×3, first 2 shown]
	v_pk_fma_f16 v25, v2, 2.0, v21 op_sel_hi:[1,0,1] neg_lo:[0,0,1] neg_hi:[0,0,1]
	v_pack_b32_f16 v28, v33, v35
	v_pack_b32_f16 v27, v27, v31
	;; [unrolled: 1-line block ×6, first 2 shown]
	v_perm_b32 v24, v66, v13, 0x5040100
	v_perm_b32 v23, v67, v12, 0x5040100
	;; [unrolled: 1-line block ×3, first 2 shown]
	ds_write_b128 v34, v[14:17]
	ds_write_b128 v34, v[25:28] offset:16
	ds_write_b128 v34, v[3:6] offset:32
	ds_write_b128 v34, v[21:24] offset:48
.LBB0_7:
	s_or_b32 exec_lo, exec_lo, s4
	s_load_dwordx4 s[4:7], s[0:1], 0x0
	v_add_co_u32 v43, s0, 0x144, v58
	v_and_b32_e32 v14, 15, v58
	v_add_co_u32 v40, null, 0x288, v58
	v_and_b32_e32 v15, 15, v43
	v_add_co_u32 v42, null, 0x3cc, v58
	v_lshlrev_b32_e32 v2, 3, v14
	v_and_b32_e32 v16, 15, v40
	v_lshlrev_b32_e32 v4, 3, v15
	v_and_b32_e32 v17, 15, v42
	s_waitcnt lgkmcnt(0)
	s_barrier
	buffer_gl0_inv
	s_clause 0x1
	global_load_dwordx2 v[2:3], v2, s[2:3]
	global_load_dwordx2 v[8:9], v4, s[2:3]
	v_lshlrev_b32_e32 v5, 3, v16
	v_lshlrev_b32_e32 v4, 3, v17
	s_clause 0x1
	global_load_dwordx2 v[6:7], v5, s[2:3]
	global_load_dwordx2 v[4:5], v4, s[2:3]
	v_mov_b32_e32 v41, 2
	v_lshrrev_b32_e32 v18, 4, v58
	v_mov_b32_e32 v19, 0xaaab
	v_lshrrev_b32_e32 v20, 4, v43
	v_lshrrev_b32_e32 v21, 4, v40
	v_lshlrev_b32_sdwa v59, v41, v58 dst_sel:DWORD dst_unused:UNUSED_PAD src0_sel:DWORD src1_sel:WORD_0
	v_mul_u32_u24_e32 v18, 48, v18
	v_lshrrev_b32_e32 v22, 4, v42
	v_mul_u32_u24_sdwa v23, v58, v19 dst_sel:DWORD dst_unused:UNUSED_PAD src0_sel:WORD_0 src1_sel:DWORD
	v_mul_u32_u24_sdwa v24, v43, v19 dst_sel:DWORD dst_unused:UNUSED_PAD src0_sel:WORD_0 src1_sel:DWORD
	ds_read_b32 v31, v59
	ds_read_b32 v32, v59 offset:1296
	ds_read_b32 v33, v59 offset:2592
	;; [unrolled: 1-line block ×11, first 2 shown]
	v_or_b32_e32 v14, v18, v14
	v_mul_u32_u24_e32 v18, 48, v20
	v_mul_u32_u24_e32 v20, 48, v21
	;; [unrolled: 1-line block ×3, first 2 shown]
	v_lshrrev_b32_e32 v22, 21, v23
	v_mul_u32_u24_sdwa v25, v40, v19 dst_sel:DWORD dst_unused:UNUSED_PAD src0_sel:WORD_0 src1_sel:DWORD
	v_mul_u32_u24_sdwa v19, v42, v19 dst_sel:DWORD dst_unused:UNUSED_PAD src0_sel:WORD_0 src1_sel:DWORD
	v_lshrrev_b32_e32 v23, 21, v24
	v_lshlrev_b32_e32 v64, 2, v14
	v_or_b32_e32 v14, v18, v15
	v_or_b32_e32 v15, v20, v16
	;; [unrolled: 1-line block ×3, first 2 shown]
	v_mul_lo_u16 v17, v22, 48
	v_lshrrev_b32_e32 v24, 21, v25
	v_lshrrev_b32_e32 v25, 21, v19
	v_mul_lo_u16 v18, v23, 48
	v_lshlrev_b32_e32 v62, 2, v14
	v_sub_nc_u16 v26, v58, v17
	v_mul_lo_u16 v19, v24, 48
	v_mul_lo_u16 v20, v25, 48
	v_sub_nc_u16 v27, v43, v18
	v_lshlrev_b32_e32 v61, 2, v15
	v_lshlrev_b16 v14, 3, v26
	v_sub_nc_u16 v28, v40, v19
	v_sub_nc_u16 v29, v42, v20
	v_lshlrev_b16 v15, 3, v27
	s_waitcnt lgkmcnt(5)
	v_lshrrev_b32_e32 v19, 16, v37
	s_waitcnt lgkmcnt(3)
	v_lshrrev_b32_e32 v20, 16, v39
	v_and_b32_e32 v14, 0xffff, v14
	v_lshlrev_b32_e32 v63, 2, v16
	v_lshlrev_b16 v16, 3, v28
	v_lshrrev_b32_e32 v47, 16, v36
	s_waitcnt lgkmcnt(2)
	v_lshrrev_b32_e32 v48, 16, v44
	s_waitcnt lgkmcnt(1)
	;; [unrolled: 2-line block ×3, first 2 shown]
	v_lshrrev_b32_e32 v54, 16, v46
	v_and_b32_e32 v55, 0xffff, v15
	v_lshrrev_b32_e32 v50, 16, v34
	v_add_co_ci_u32_e64 v30, null, 0, 0, s0
	v_add_co_u32 v14, s0, s2, v14
	v_lshrrev_b32_e32 v53, 16, v35
	v_lshrrev_b32_e32 v18, 16, v31
	v_and_b32_e32 v56, 0xffff, v16
	v_add_co_ci_u32_e64 v15, null, s3, 0, s0
	v_add_co_u32 v16, s0, s2, v55
	v_lshrrev_b32_e32 v21, 16, v32
	v_lshrrev_b32_e32 v52, 16, v38
	;; [unrolled: 1-line block ×3, first 2 shown]
	v_lshlrev_b16 v17, 3, v29
	s_waitcnt vmcnt(0)
	s_barrier
	buffer_gl0_inv
	v_mad_u16 v22, 0x90, v22, v26
	v_and_b32_e32 v57, 0xffff, v17
	v_add_co_ci_u32_e64 v17, null, s3, 0, s0
	v_mad_u16 v23, 0x90, v23, v27
	v_mad_u16 v24, 0x90, v24, v28
	;; [unrolled: 1-line block ×3, first 2 shown]
	v_mul_f16_sdwa v69, v19, v2 dst_sel:DWORD dst_unused:UNUSED_PAD src0_sel:DWORD src1_sel:WORD_1
	v_mul_f16_sdwa v70, v37, v2 dst_sel:DWORD dst_unused:UNUSED_PAD src0_sel:DWORD src1_sel:WORD_1
	;; [unrolled: 1-line block ×5, first 2 shown]
	v_fma_f16 v37, v37, v2, -v69
	v_fmac_f16_e32 v70, v19, v2
	v_fma_f16 v19, v39, v3, -v71
	v_fmac_f16_e32 v72, v20, v3
	v_mul_f16_sdwa v20, v47, v8 dst_sel:DWORD dst_unused:UNUSED_PAD src0_sel:DWORD src1_sel:WORD_1
	v_mul_f16_sdwa v39, v36, v8 dst_sel:DWORD dst_unused:UNUSED_PAD src0_sel:DWORD src1_sel:WORD_1
	;; [unrolled: 1-line block ×11, first 2 shown]
	v_fma_f16 v20, v36, v8, -v20
	v_fmac_f16_e32 v39, v47, v8
	v_fma_f16 v36, v44, v9, -v55
	v_fmac_f16_e32 v69, v48, v9
	v_fmac_f16_e32 v73, v50, v6
	v_fma_f16 v44, v45, v7, -v74
	v_fmac_f16_e32 v75, v51, v7
	;; [unrolled: 3-line block ×3, first 2 shown]
	v_add_f16_e32 v46, v31, v37
	v_add_f16_e32 v47, v37, v19
	;; [unrolled: 1-line block ×4, first 2 shown]
	v_fma_f16 v34, v34, v6, -v71
	v_fma_f16 v35, v35, v4, -v76
	v_sub_f16_e32 v48, v70, v72
	v_sub_f16_e32 v37, v37, v19
	v_add_f16_e32 v19, v46, v19
	v_fmac_f16_e32 v31, -0.5, v47
	v_add_f16_e32 v46, v50, v72
	v_fmac_f16_e32 v18, -0.5, v51
	v_add_f16_e32 v50, v20, v36
	v_sub_f16_e32 v51, v39, v69
	v_add_f16_e32 v53, v21, v39
	v_add_f16_e32 v39, v39, v69
	v_sub_f16_e32 v76, v77, v79
	v_add_f16_e32 v78, v52, v77
	v_add_f16_e32 v77, v77, v79
	;; [unrolled: 1-line block ×6, first 2 shown]
	v_sub_f16_e32 v20, v20, v36
	v_sub_f16_e32 v70, v73, v75
	v_add_f16_e32 v71, v49, v73
	v_add_f16_e32 v73, v38, v35
	v_sub_f16_e32 v35, v35, v45
	v_fmamk_f16 v80, v48, 0x3aee, v31
	v_fmac_f16_e32 v31, 0xbaee, v48
	v_fmamk_f16 v48, v37, 0xbaee, v18
	v_fmac_f16_e32 v32, -0.5, v50
	v_fmac_f16_e32 v21, -0.5, v39
	;; [unrolled: 1-line block ×3, first 2 shown]
	v_fmac_f16_e32 v18, 0x3aee, v37
	v_add_f16_e32 v54, v33, v34
	v_sub_f16_e32 v34, v34, v44
	v_fmac_f16_e32 v33, -0.5, v55
	v_fmac_f16_e32 v49, -0.5, v72
	;; [unrolled: 1-line block ×3, first 2 shown]
	v_add_f16_e32 v36, v47, v36
	v_add_f16_e32 v37, v53, v69
	v_pack_b32_f16 v19, v19, v46
	v_fmamk_f16 v46, v51, 0x3aee, v32
	v_fmamk_f16 v50, v20, 0xbaee, v21
	;; [unrolled: 1-line block ×3, first 2 shown]
	v_fmac_f16_e32 v52, 0x3aee, v35
	v_pack_b32_f16 v35, v80, v48
	v_fmac_f16_e32 v32, 0xbaee, v51
	v_fmac_f16_e32 v21, 0x3aee, v20
	v_pack_b32_f16 v18, v31, v18
	v_add_f16_e32 v39, v54, v44
	v_add_f16_e32 v44, v71, v75
	v_fmamk_f16 v20, v70, 0x3aee, v33
	v_fmamk_f16 v51, v34, 0xbaee, v49
	v_fmac_f16_e32 v33, 0xbaee, v70
	v_fmac_f16_e32 v49, 0x3aee, v34
	v_add_f16_e32 v45, v73, v45
	v_add_f16_e32 v47, v78, v79
	v_fmamk_f16 v34, v76, 0x3aee, v38
	v_fmac_f16_e32 v38, 0xbaee, v76
	v_pack_b32_f16 v31, v36, v37
	ds_write2_b32 v64, v19, v35 offset1:16
	ds_write_b32 v64, v18 offset:128
	v_pack_b32_f16 v18, v46, v50
	v_pack_b32_f16 v19, v32, v21
	;; [unrolled: 1-line block ×8, first 2 shown]
	ds_write2_b32 v62, v31, v18 offset1:16
	ds_write_b32 v62, v19 offset:128
	ds_write2_b32 v61, v36, v20 offset1:16
	ds_write_b32 v61, v21 offset:128
	ds_write2_b32 v63, v37, v32 offset1:16
	ds_write_b32 v63, v33 offset:128
	s_waitcnt lgkmcnt(0)
	s_barrier
	buffer_gl0_inv
	s_clause 0x1
	global_load_dwordx2 v[20:21], v[14:15], off offset:128
	global_load_dwordx2 v[18:19], v[16:17], off offset:128
	v_add_co_u32 v14, s0, s2, v56
	v_add_co_ci_u32_e64 v15, null, s3, 0, s0
	v_add_co_u32 v31, s0, s2, v57
	v_add_co_ci_u32_e64 v32, null, s3, 0, s0
	s_clause 0x1
	global_load_dwordx2 v[16:17], v[14:15], off offset:128
	global_load_dwordx2 v[14:15], v[31:32], off offset:128
	v_mov_b32_e32 v31, 0xe38f
	v_lshlrev_b32_sdwa v72, v41, v22 dst_sel:DWORD dst_unused:UNUSED_PAD src0_sel:DWORD src1_sel:WORD_0
	v_lshlrev_b32_sdwa v69, v41, v24 dst_sel:DWORD dst_unused:UNUSED_PAD src0_sel:DWORD src1_sel:WORD_0
	;; [unrolled: 1-line block ×4, first 2 shown]
	v_mul_u32_u24_sdwa v32, v58, v31 dst_sel:DWORD dst_unused:UNUSED_PAD src0_sel:WORD_0 src1_sel:DWORD
	v_mul_u32_u24_sdwa v33, v43, v31 dst_sel:DWORD dst_unused:UNUSED_PAD src0_sel:WORD_0 src1_sel:DWORD
	;; [unrolled: 1-line block ×4, first 2 shown]
	v_lshrrev_b32_e32 v32, 23, v32
	v_lshrrev_b32_e32 v33, 23, v33
	;; [unrolled: 1-line block ×4, first 2 shown]
	v_mul_lo_u16 v35, 0x90, v32
	v_mul_lo_u16 v37, 0x90, v33
	;; [unrolled: 1-line block ×4, first 2 shown]
	v_sub_nc_u16 v36, v58, v35
	v_sub_nc_u16 v37, v43, v37
	;; [unrolled: 1-line block ×4, first 2 shown]
	v_lshlrev_b16 v26, 3, v36
	v_lshlrev_b16 v27, 3, v37
	;; [unrolled: 1-line block ×4, first 2 shown]
	v_mad_u16 v32, 0x1b0, v32, v36
	v_and_b32_e32 v22, 0xffff, v26
	v_and_b32_e32 v24, 0xffff, v27
	;; [unrolled: 1-line block ×4, first 2 shown]
	ds_read_b32 v27, v59 offset:10368
	ds_read_b32 v28, v59
	ds_read_b32 v29, v59 offset:1296
	ds_read_b32 v39, v59 offset:2592
	;; [unrolled: 1-line block ×10, first 2 shown]
	v_add_co_u32 v22, s0, s2, v22
	v_add_co_ci_u32_e64 v23, null, s3, 0, s0
	v_add_co_u32 v24, s0, s2, v24
	v_add_co_ci_u32_e64 v25, null, s3, 0, s0
	s_waitcnt lgkmcnt(11)
	v_lshrrev_b32_e32 v55, 16, v27
	s_waitcnt lgkmcnt(10)
	v_lshrrev_b32_e32 v53, 16, v28
	;; [unrolled: 2-line block ×12, first 2 shown]
	s_waitcnt vmcnt(0)
	s_barrier
	buffer_gl0_inv
	v_mad_u16 v33, 0x1b0, v33, v37
	v_mad_u16 v31, 0x1b0, v31, v35
	;; [unrolled: 1-line block ×3, first 2 shown]
	v_mul_f16_sdwa v80, v54, v20 dst_sel:DWORD dst_unused:UNUSED_PAD src0_sel:DWORD src1_sel:WORD_1
	v_mul_f16_sdwa v81, v45, v20 dst_sel:DWORD dst_unused:UNUSED_PAD src0_sel:DWORD src1_sel:WORD_1
	;; [unrolled: 1-line block ×8, first 2 shown]
	v_fma_f16 v45, v45, v20, -v80
	v_fmac_f16_e32 v81, v54, v20
	v_fma_f16 v27, v27, v21, -v82
	v_mul_f16_sdwa v88, v75, v16 dst_sel:DWORD dst_unused:UNUSED_PAD src0_sel:DWORD src1_sel:WORD_1
	v_mul_f16_sdwa v89, v47, v16 dst_sel:DWORD dst_unused:UNUSED_PAD src0_sel:DWORD src1_sel:WORD_1
	;; [unrolled: 1-line block ×8, first 2 shown]
	v_fmac_f16_e32 v83, v55, v21
	v_fma_f16 v46, v46, v18, -v84
	v_fmac_f16_e32 v85, v57, v18
	v_fma_f16 v49, v49, v19, -v86
	;; [unrolled: 2-line block ×6, first 2 shown]
	v_fmac_f16_e32 v95, v78, v15
	v_add_f16_e32 v55, v45, v27
	v_add_f16_e32 v75, v81, v83
	;; [unrolled: 1-line block ×3, first 2 shown]
	v_sub_f16_e32 v73, v81, v83
	v_add_f16_e32 v77, v46, v49
	v_add_f16_e32 v81, v85, v87
	;; [unrolled: 1-line block ×5, first 2 shown]
	v_sub_f16_e32 v45, v45, v27
	v_add_f16_e32 v76, v29, v46
	v_add_f16_e32 v78, v56, v85
	v_sub_f16_e32 v80, v85, v87
	v_add_f16_e32 v82, v39, v47
	v_add_f16_e32 v85, v74, v89
	;; [unrolled: 3-line block ×3, first 2 shown]
	v_add_f16_e32 v92, v79, v93
	v_sub_f16_e32 v94, v93, v95
	v_add_f16_e32 v93, v93, v95
	v_fmac_f16_e32 v28, -0.5, v55
	v_fmac_f16_e32 v53, -0.5, v75
	v_sub_f16_e32 v46, v46, v49
	v_fmac_f16_e32 v29, -0.5, v77
	v_fmac_f16_e32 v56, -0.5, v81
	v_sub_f16_e32 v47, v47, v50
	;; [unrolled: 3-line block ×3, first 2 shown]
	v_add_f16_e32 v27, v54, v27
	v_add_f16_e32 v54, v57, v83
	;; [unrolled: 1-line block ×7, first 2 shown]
	v_fmac_f16_e32 v52, -0.5, v90
	v_add_f16_e32 v75, v92, v95
	v_fmac_f16_e32 v79, -0.5, v93
	v_fmamk_f16 v76, v73, 0x3aee, v28
	v_fmac_f16_e32 v28, 0xbaee, v73
	v_fmamk_f16 v73, v45, 0xbaee, v53
	v_fmac_f16_e32 v53, 0x3aee, v45
	v_fmamk_f16 v45, v80, 0x3aee, v29
	v_fmamk_f16 v77, v46, 0xbaee, v56
	v_fmac_f16_e32 v29, 0xbaee, v80
	v_fmac_f16_e32 v56, 0x3aee, v46
	v_fmamk_f16 v46, v86, 0x3aee, v39
	v_fmamk_f16 v78, v47, 0xbaee, v74
	v_fmac_f16_e32 v39, 0xbaee, v86
	v_fmac_f16_e32 v74, 0x3aee, v47
	v_fmamk_f16 v47, v94, 0x3aee, v52
	v_fmac_f16_e32 v52, 0xbaee, v94
	v_fmamk_f16 v80, v48, 0xbaee, v79
	v_fmac_f16_e32 v79, 0x3aee, v48
	v_pack_b32_f16 v27, v27, v54
	v_pack_b32_f16 v48, v49, v55
	v_pack_b32_f16 v49, v50, v57
	v_pack_b32_f16 v50, v51, v75
	v_pack_b32_f16 v51, v76, v73
	v_pack_b32_f16 v28, v28, v53
	v_pack_b32_f16 v45, v45, v77
	v_pack_b32_f16 v29, v29, v56
	v_pack_b32_f16 v46, v46, v78
	v_pack_b32_f16 v39, v39, v74
	v_pack_b32_f16 v47, v47, v80
	v_pack_b32_f16 v52, v52, v79
	ds_write2_b32 v72, v27, v51 offset1:48
	ds_write_b32 v72, v28 offset:384
	ds_write2_b32 v71, v48, v45 offset1:48
	ds_write_b32 v71, v29 offset:384
	;; [unrolled: 2-line block ×4, first 2 shown]
	s_waitcnt lgkmcnt(0)
	s_barrier
	buffer_gl0_inv
	global_load_dwordx2 v[28:29], v[22:23], off offset:512
	v_add_co_u32 v22, s0, s2, v26
	v_add_co_ci_u32_e64 v23, null, s3, 0, s0
	v_add_co_u32 v38, s0, s2, v38
	v_add_co_ci_u32_e64 v39, null, s3, 0, s0
	s_clause 0x2
	global_load_dwordx2 v[26:27], v[24:25], off offset:512
	global_load_dwordx2 v[24:25], v[22:23], off offset:512
	;; [unrolled: 1-line block ×3, first 2 shown]
	v_add_co_u32 v38, s0, 0xffffff94, v58
	v_add_co_ci_u32_e64 v39, null, 0, -1, s0
	v_cmp_gt_u16_e64 s0, 0x6c, v58
	v_mov_b32_e32 v45, 0x12f7
	v_lshrrev_b16 v46, 4, v40
	v_lshlrev_b32_sdwa v73, v41, v32 dst_sel:DWORD dst_unused:UNUSED_PAD src0_sel:DWORD src1_sel:WORD_0
	ds_read_b32 v32, v59 offset:5184
	ds_read_b32 v35, v59 offset:10368
	ds_read_b32 v36, v59 offset:11664
	ds_read_b32 v37, v59 offset:6480
	ds_read_b32 v44, v59 offset:7776
	ds_read_b32 v50, v59 offset:9072
	ds_read_b32 v51, v59 offset:12960
	ds_read_b32 v52, v59 offset:14256
	ds_read_b32 v53, v59
	ds_read_b32 v54, v59 offset:1296
	ds_read_b32 v55, v59 offset:3888
	;; [unrolled: 1-line block ×3, first 2 shown]
	v_cndmask_b32_e64 v39, v39, v30, s0
	v_lshrrev_b16 v30, 4, v42
	v_mul_u32_u24_sdwa v46, v46, v45 dst_sel:DWORD dst_unused:UNUSED_PAD src0_sel:WORD_0 src1_sel:DWORD
	v_cndmask_b32_e64 v38, v38, v43, s0
	v_lshlrev_b32_sdwa v75, v41, v31 dst_sel:DWORD dst_unused:UNUSED_PAD src0_sel:DWORD src1_sel:WORD_0
	v_lshlrev_b32_sdwa v74, v41, v34 dst_sel:DWORD dst_unused:UNUSED_PAD src0_sel:DWORD src1_sel:WORD_0
	v_mul_u32_u24_sdwa v30, v30, v45 dst_sel:DWORD dst_unused:UNUSED_PAD src0_sel:WORD_0 src1_sel:DWORD
	v_lshrrev_b32_e32 v45, 17, v46
	v_lshlrev_b64 v[46:47], 3, v[38:39]
	s_waitcnt lgkmcnt(11)
	v_lshrrev_b32_e32 v31, 16, v32
	s_waitcnt lgkmcnt(10)
	v_lshrrev_b32_e32 v34, 16, v35
	v_lshrrev_b32_e32 v30, 17, v30
	v_mul_lo_u16 v39, 0x1b0, v45
	v_lshlrev_b32_sdwa v76, v41, v33 dst_sel:DWORD dst_unused:UNUSED_PAD src0_sel:DWORD src1_sel:WORD_0
	s_waitcnt lgkmcnt(9)
	v_lshrrev_b32_e32 v77, 16, v36
	s_waitcnt lgkmcnt(7)
	v_lshrrev_b32_e32 v78, 16, v44
	v_mul_lo_u16 v30, 0x1b0, v30
	v_sub_nc_u16 v49, v40, v39
	s_waitcnt lgkmcnt(5)
	v_lshrrev_b32_e32 v79, 16, v51
	v_lshrrev_b32_e32 v80, 16, v50
	s_waitcnt lgkmcnt(4)
	v_lshrrev_b32_e32 v81, 16, v52
	v_sub_nc_u16 v39, v42, v30
	s_waitcnt lgkmcnt(3)
	v_lshrrev_b32_e32 v82, 16, v53
	s_waitcnt lgkmcnt(2)
	v_lshrrev_b32_e32 v83, 16, v54
	;; [unrolled: 2-line block ×3, first 2 shown]
	v_lshrrev_b32_e32 v85, 16, v55
	v_lshlrev_b16 v57, 3, v39
	v_lshlrev_b16 v30, 3, v49
	v_add_co_u32 v46, s0, s2, v46
	v_lshlrev_b32_e32 v48, 3, v58
	v_and_b32_e32 v33, 0xffff, v57
	v_lshrrev_b32_e32 v57, 16, v37
	v_and_b32_e32 v30, 0xffff, v30
	v_add_co_ci_u32_e64 v47, s0, s3, v47, s0
	s_waitcnt vmcnt(0)
	s_barrier
	v_add_co_u32 v30, s0, s2, v30
	buffer_gl0_inv
	v_mad_u16 v45, 0x510, v45, v49
	v_lshlrev_b32_e32 v40, 3, v40
	v_mul_f16_sdwa v86, v31, v28 dst_sel:DWORD dst_unused:UNUSED_PAD src0_sel:DWORD src1_sel:WORD_1
	v_mul_f16_sdwa v87, v32, v28 dst_sel:DWORD dst_unused:UNUSED_PAD src0_sel:DWORD src1_sel:WORD_1
	;; [unrolled: 1-line block ×4, first 2 shown]
	v_fma_f16 v32, v32, v28, -v86
	v_fmac_f16_e32 v87, v31, v28
	v_fma_f16 v31, v35, v29, -v88
	v_fmac_f16_e32 v89, v34, v29
	v_mul_f16_sdwa v90, v57, v26 dst_sel:DWORD dst_unused:UNUSED_PAD src0_sel:DWORD src1_sel:WORD_1
	v_mul_f16_sdwa v91, v37, v26 dst_sel:DWORD dst_unused:UNUSED_PAD src0_sel:DWORD src1_sel:WORD_1
	;; [unrolled: 1-line block ×12, first 2 shown]
	v_fma_f16 v34, v37, v26, -v90
	v_fmac_f16_e32 v91, v57, v26
	v_fma_f16 v35, v36, v27, -v92
	v_fmac_f16_e32 v93, v77, v27
	;; [unrolled: 2-line block ×6, first 2 shown]
	v_add_f16_e32 v52, v32, v31
	v_add_f16_e32 v77, v87, v89
	;; [unrolled: 1-line block ×9, first 2 shown]
	v_sub_f16_e32 v32, v32, v31
	v_add_f16_e32 v57, v82, v87
	v_sub_f16_e32 v78, v87, v89
	v_add_f16_e32 v79, v54, v34
	v_add_f16_e32 v81, v83, v91
	v_sub_f16_e32 v87, v91, v93
	v_add_f16_e32 v91, v84, v95
	v_sub_f16_e32 v94, v95, v97
	v_add_f16_e32 v95, v55, v44
	v_add_f16_e32 v98, v85, v99
	v_fmac_f16_e32 v53, -0.5, v52
	v_fmac_f16_e32 v82, -0.5, v77
	v_sub_f16_e32 v34, v34, v35
	v_fmac_f16_e32 v54, -0.5, v80
	v_fmac_f16_e32 v83, -0.5, v86
	v_add_f16_e32 v88, v56, v36
	v_sub_f16_e32 v36, v36, v37
	v_sub_f16_e32 v44, v44, v50
	;; [unrolled: 1-line block ×3, first 2 shown]
	v_fmac_f16_e32 v56, -0.5, v90
	v_fmac_f16_e32 v84, -0.5, v92
	v_fmac_f16_e32 v55, -0.5, v96
	v_fmac_f16_e32 v85, -0.5, v100
	v_add_f16_e32 v31, v51, v31
	v_add_f16_e32 v51, v57, v89
	;; [unrolled: 1-line block ×5, first 2 shown]
	v_fmamk_f16 v79, v78, 0x3aee, v53
	v_fmac_f16_e32 v53, 0xbaee, v78
	v_fmamk_f16 v78, v32, 0xbaee, v82
	v_fmac_f16_e32 v82, 0x3aee, v32
	v_add_f16_e32 v52, v81, v93
	v_fmamk_f16 v32, v87, 0x3aee, v54
	v_fmamk_f16 v80, v34, 0xbaee, v83
	v_fmac_f16_e32 v54, 0xbaee, v87
	v_fmac_f16_e32 v83, 0x3aee, v34
	v_add_f16_e32 v37, v88, v37
	v_add_f16_e32 v57, v91, v97
	v_fmamk_f16 v34, v94, 0x3aee, v56
	v_fmamk_f16 v81, v36, 0xbaee, v84
	v_fmac_f16_e32 v84, 0x3aee, v36
	v_fmamk_f16 v36, v99, 0x3aee, v55
	v_fmamk_f16 v86, v44, 0xbaee, v85
	v_fmac_f16_e32 v56, 0xbaee, v94
	v_fmac_f16_e32 v55, 0xbaee, v99
	;; [unrolled: 1-line block ×3, first 2 shown]
	v_pack_b32_f16 v31, v31, v51
	v_pack_b32_f16 v44, v50, v77
	;; [unrolled: 1-line block ×12, first 2 shown]
	ds_write2_b32 v73, v31, v50 offset1:144
	ds_write_b32 v73, v51 offset:1152
	ds_write2_b32 v76, v35, v32 offset1:144
	ds_write_b32 v76, v52 offset:1152
	;; [unrolled: 2-line block ×4, first 2 shown]
	s_waitcnt lgkmcnt(0)
	s_barrier
	buffer_gl0_inv
	s_clause 0x1
	global_load_dwordx2 v[36:37], v48, s[2:3] offset:1664
	global_load_dwordx2 v[34:35], v[46:47], off offset:1664
	v_add_co_ci_u32_e64 v31, null, s3, 0, s0
	v_add_co_u32 v46, s0, s2, v33
	v_add_co_ci_u32_e64 v47, null, s3, 0, s0
	s_clause 0x1
	global_load_dwordx2 v[32:33], v[30:31], off offset:1664
	global_load_dwordx2 v[30:31], v[46:47], off offset:1664
	v_cmp_lt_u16_e64 s0, 0x6b, v58
	ds_read_b32 v49, v59 offset:5184
	ds_read_b32 v52, v59 offset:10368
	;; [unrolled: 1-line block ×8, first 2 shown]
	ds_read_b32 v81, v59
	ds_read_b32 v82, v59 offset:1296
	ds_read_b32 v83, v59 offset:3888
	;; [unrolled: 1-line block ×3, first 2 shown]
	v_lshlrev_b32_e32 v50, 3, v42
	v_lshlrev_b32_sdwa v78, v41, v39 dst_sel:DWORD dst_unused:UNUSED_PAD src0_sel:DWORD src1_sel:WORD_0
	v_lshlrev_b32_sdwa v79, v41, v45 dst_sel:DWORD dst_unused:UNUSED_PAD src0_sel:DWORD src1_sel:WORD_0
	v_cndmask_b32_e64 v44, 0, 0x510, s0
	v_add_co_u32 v46, s0, s2, v48
	v_add_co_ci_u32_e64 v47, null, s3, 0, s0
	v_lshlrev_b32_e32 v48, 3, v43
	v_add_co_u32 v42, s0, 0x1000, v46
	v_add_co_ci_u32_e64 v43, s0, 0, v47, s0
	v_add_lshl_u32 v77, v38, v44, 2
	v_add_co_u32 v38, s0, s2, v48
	v_add_co_ci_u32_e64 v44, null, s3, 0, s0
	v_add_co_u32 v40, s0, s2, v40
	v_add_co_ci_u32_e64 v48, null, s3, 0, s0
	;; [unrolled: 2-line block ×3, first 2 shown]
	v_add_co_u32 v46, s0, 0x1000, v38
	s_waitcnt lgkmcnt(11)
	v_lshrrev_b32_e32 v38, 16, v49
	s_waitcnt lgkmcnt(10)
	v_lshrrev_b32_e32 v39, 16, v52
	v_add_co_ci_u32_e64 v47, s0, 0, v44, s0
	s_waitcnt lgkmcnt(8)
	v_lshrrev_b32_e32 v41, 16, v54
	v_lshrrev_b32_e32 v44, 16, v53
	s_waitcnt lgkmcnt(7)
	v_lshrrev_b32_e32 v45, 16, v55
	s_waitcnt lgkmcnt(5)
	v_lshrrev_b32_e32 v85, 16, v57
	v_lshrrev_b32_e32 v86, 16, v56
	s_waitcnt lgkmcnt(4)
	v_lshrrev_b32_e32 v87, 16, v80
	s_waitcnt lgkmcnt(3)
	;; [unrolled: 2-line block ×4, first 2 shown]
	v_lshrrev_b32_e32 v90, 16, v84
	v_lshrrev_b32_e32 v91, 16, v83
	s_waitcnt vmcnt(0)
	s_barrier
	buffer_gl0_inv
	v_mul_f16_sdwa v92, v38, v36 dst_sel:DWORD dst_unused:UNUSED_PAD src0_sel:DWORD src1_sel:WORD_1
	v_mul_f16_sdwa v93, v49, v36 dst_sel:DWORD dst_unused:UNUSED_PAD src0_sel:DWORD src1_sel:WORD_1
	;; [unrolled: 1-line block ×8, first 2 shown]
	v_fma_f16 v49, v49, v36, -v92
	v_mul_f16_sdwa v100, v45, v32 dst_sel:DWORD dst_unused:UNUSED_PAD src0_sel:DWORD src1_sel:WORD_1
	v_mul_f16_sdwa v101, v55, v32 dst_sel:DWORD dst_unused:UNUSED_PAD src0_sel:DWORD src1_sel:WORD_1
	;; [unrolled: 1-line block ×8, first 2 shown]
	v_fmac_f16_e32 v93, v38, v36
	v_fma_f16 v38, v52, v37, -v94
	v_fmac_f16_e32 v95, v39, v37
	v_fma_f16 v39, v54, v34, -v96
	;; [unrolled: 2-line block ×7, first 2 shown]
	v_fmac_f16_e32 v107, v87, v31
	v_add_f16_e32 v54, v81, v49
	v_add_f16_e32 v55, v49, v38
	;; [unrolled: 1-line block ×6, first 2 shown]
	v_sub_f16_e32 v49, v49, v38
	v_sub_f16_e32 v80, v93, v95
	v_add_f16_e32 v85, v82, v39
	v_add_f16_e32 v96, v44, v45
	;; [unrolled: 1-line block ×6, first 2 shown]
	v_fmac_f16_e32 v81, -0.5, v55
	v_add_f16_e32 v54, v56, v95
	v_fmac_f16_e32 v88, -0.5, v57
	v_add_f16_e32 v87, v89, v97
	v_sub_f16_e32 v93, v97, v99
	v_add_f16_e32 v97, v90, v101
	v_sub_f16_e32 v100, v101, v103
	v_add_f16_e32 v101, v83, v52
	v_add_f16_e32 v104, v91, v105
	v_sub_f16_e32 v39, v39, v41
	v_fmac_f16_e32 v82, -0.5, v86
	v_fmac_f16_e32 v89, -0.5, v92
	v_add_f16_e32 v94, v84, v44
	v_sub_f16_e32 v44, v44, v45
	v_sub_f16_e32 v52, v52, v53
	v_sub_f16_e32 v105, v105, v107
	v_add_f16_e32 v41, v85, v41
	v_fmac_f16_e32 v84, -0.5, v96
	v_fmac_f16_e32 v90, -0.5, v98
	;; [unrolled: 1-line block ×4, first 2 shown]
	v_fmamk_f16 v85, v80, 0x3aee, v81
	v_fmac_f16_e32 v81, 0xbaee, v80
	v_fmamk_f16 v80, v49, 0xbaee, v88
	v_pack_b32_f16 v38, v38, v54
	v_add_f16_e32 v53, v101, v53
	v_add_f16_e32 v57, v104, v107
	v_fmac_f16_e32 v88, 0x3aee, v49
	v_add_f16_e32 v55, v87, v99
	v_fmamk_f16 v49, v93, 0x3aee, v82
	v_fmamk_f16 v86, v39, 0xbaee, v89
	v_fmac_f16_e32 v82, 0xbaee, v93
	v_fmac_f16_e32 v89, 0x3aee, v39
	v_add_f16_e32 v45, v94, v45
	v_add_f16_e32 v56, v97, v103
	v_fmamk_f16 v39, v100, 0x3aee, v84
	v_fmac_f16_e32 v84, 0xbaee, v100
	v_fmamk_f16 v87, v44, 0xbaee, v90
	v_fmac_f16_e32 v90, 0x3aee, v44
	v_fmamk_f16 v44, v105, 0x3aee, v83
	v_fmac_f16_e32 v83, 0xbaee, v105
	v_fmamk_f16 v92, v52, 0xbaee, v91
	v_fmac_f16_e32 v91, 0x3aee, v52
	ds_write_b32 v59, v38
	v_pack_b32_f16 v38, v85, v80
	v_pack_b32_f16 v52, v53, v57
	;; [unrolled: 1-line block ×11, first 2 shown]
	ds_write_b32 v59, v38 offset:1728
	ds_write_b32 v59, v53 offset:3456
	ds_write_b32 v77, v41
	ds_write_b32 v77, v49 offset:1728
	ds_write_b32 v77, v54 offset:3456
	ds_write_b32 v79, v45
	ds_write_b32 v79, v39 offset:1728
	ds_write_b32 v79, v55 offset:3456
	;; [unrolled: 1-line block ×5, first 2 shown]
	v_add_co_u32 v38, s0, 0x1000, v40
	v_add_co_ci_u32_e64 v39, s0, 0, v48, s0
	s_waitcnt lgkmcnt(0)
	s_barrier
	buffer_gl0_inv
	s_clause 0x1
	global_load_dwordx2 v[44:45], v[42:43], off offset:1024
	global_load_dwordx2 v[42:43], v[46:47], off offset:1024
	v_add_co_u32 v46, s0, 0x1000, v50
	v_add_co_ci_u32_e64 v47, s0, 0, v51, s0
	s_clause 0x1
	global_load_dwordx2 v[40:41], v[38:39], off offset:1024
	global_load_dwordx2 v[38:39], v[46:47], off offset:1024
	ds_read_b32 v47, v59 offset:5184
	ds_read_b32 v48, v59 offset:10368
	;; [unrolled: 1-line block ×8, first 2 shown]
	ds_read_b32 v46, v59
	ds_read_b32 v49, v59 offset:1296
	ds_read_b32 v50, v59 offset:2592
	;; [unrolled: 1-line block ×3, first 2 shown]
	s_waitcnt lgkmcnt(11)
	v_lshrrev_b32_e32 v83, 16, v47
	s_waitcnt lgkmcnt(10)
	v_lshrrev_b32_e32 v85, 16, v48
	;; [unrolled: 2-line block ×12, first 2 shown]
	s_waitcnt vmcnt(3)
	v_mul_f16_sdwa v92, v83, v44 dst_sel:DWORD dst_unused:UNUSED_PAD src0_sel:DWORD src1_sel:WORD_1
	v_mul_f16_sdwa v93, v47, v44 dst_sel:DWORD dst_unused:UNUSED_PAD src0_sel:DWORD src1_sel:WORD_1
	v_mul_f16_sdwa v94, v85, v45 dst_sel:DWORD dst_unused:UNUSED_PAD src0_sel:DWORD src1_sel:WORD_1
	v_mul_f16_sdwa v95, v48, v45 dst_sel:DWORD dst_unused:UNUSED_PAD src0_sel:DWORD src1_sel:WORD_1
	s_waitcnt vmcnt(2)
	v_mul_f16_sdwa v96, v86, v42 dst_sel:DWORD dst_unused:UNUSED_PAD src0_sel:DWORD src1_sel:WORD_1
	v_mul_f16_sdwa v97, v51, v42 dst_sel:DWORD dst_unused:UNUSED_PAD src0_sel:DWORD src1_sel:WORD_1
	v_mul_f16_sdwa v98, v87, v43 dst_sel:DWORD dst_unused:UNUSED_PAD src0_sel:DWORD src1_sel:WORD_1
	v_mul_f16_sdwa v99, v52, v43 dst_sel:DWORD dst_unused:UNUSED_PAD src0_sel:DWORD src1_sel:WORD_1
	;; [unrolled: 5-line block ×3, first 2 shown]
	v_mul_f16_sdwa v102, v89, v41 dst_sel:DWORD dst_unused:UNUSED_PAD src0_sel:DWORD src1_sel:WORD_1
	v_mul_f16_sdwa v103, v55, v41 dst_sel:DWORD dst_unused:UNUSED_PAD src0_sel:DWORD src1_sel:WORD_1
	;; [unrolled: 1-line block ×4, first 2 shown]
	v_fma_f16 v47, v47, v44, -v92
	v_fmac_f16_e32 v93, v83, v44
	v_fma_f16 v48, v48, v45, -v94
	v_fmac_f16_e32 v95, v85, v45
	v_fma_f16 v56, v56, v38, -v104
	v_fma_f16 v51, v51, v42, -v96
	v_fmac_f16_e32 v97, v86, v42
	v_fma_f16 v52, v52, v43, -v98
	v_fmac_f16_e32 v99, v87, v43
	v_fma_f16 v57, v57, v39, -v106
	v_fma_f16 v54, v54, v40, -v100
	v_fmac_f16_e32 v101, v88, v40
	v_fma_f16 v55, v55, v41, -v102
	v_fmac_f16_e32 v103, v89, v41
	v_fmac_f16_e32 v105, v90, v38
	;; [unrolled: 1-line block ×3, first 2 shown]
	v_add_f16_e32 v87, v47, v48
	v_add_f16_e32 v90, v93, v95
	;; [unrolled: 1-line block ×6, first 2 shown]
	v_sub_f16_e32 v92, v56, v57
	v_add_f16_e32 v56, v49, v51
	v_add_f16_e32 v86, v51, v52
	;; [unrolled: 1-line block ×9, first 2 shown]
	v_sub_f16_e32 v93, v93, v95
	v_add_f16_e32 v108, v105, v107
	v_sub_f16_e32 v109, v47, v48
	v_fmac_f16_e32 v46, -0.5, v87
	v_fmac_f16_e32 v81, -0.5, v90
	v_sub_f16_e32 v89, v51, v52
	v_sub_f16_e32 v110, v54, v55
	v_add_f16_e32 v51, v83, v57
	v_add_f16_e32 v83, v88, v95
	v_add_f16_e32 v54, v91, v48
	v_sub_f16_e32 v97, v97, v99
	v_add_f16_e32 v47, v56, v52
	v_fmac_f16_e32 v49, -0.5, v86
	v_add_f16_e32 v86, v94, v99
	v_fmac_f16_e32 v80, -0.5, v96
	v_add_f16_e32 v88, v102, v103
	v_add_f16_e32 v56, v100, v55
	v_sub_f16_e32 v101, v101, v103
	v_fmac_f16_e32 v50, -0.5, v98
	v_fmac_f16_e32 v82, -0.5, v104
	v_add_f16_e32 v90, v106, v107
	v_sub_f16_e32 v105, v105, v107
	v_fmac_f16_e32 v53, -0.5, v85
	v_fmac_f16_e32 v84, -0.5, v108
	v_fmamk_f16 v55, v93, 0x3aee, v46
	v_fmamk_f16 v87, v109, 0xbaee, v81
	v_fmac_f16_e32 v46, 0xbaee, v93
	v_fmac_f16_e32 v81, 0x3aee, v109
	v_pack_b32_f16 v93, v54, v83
	v_fmamk_f16 v48, v97, 0x3aee, v49
	v_fmamk_f16 v85, v89, 0xbaee, v80
	v_pack_b32_f16 v94, v47, v86
	v_fmac_f16_e32 v49, 0xbaee, v97
	v_fmac_f16_e32 v80, 0x3aee, v89
	v_pack_b32_f16 v95, v56, v88
	v_fmamk_f16 v57, v101, 0x3aee, v50
	v_fmamk_f16 v89, v110, 0xbaee, v82
	v_pack_b32_f16 v96, v51, v90
	v_fmac_f16_e32 v50, 0xbaee, v101
	v_fmac_f16_e32 v82, 0x3aee, v110
	v_fmamk_f16 v52, v105, 0x3aee, v53
	v_fmac_f16_e32 v53, 0xbaee, v105
	v_fmamk_f16 v91, v92, 0xbaee, v84
	v_fmac_f16_e32 v84, 0x3aee, v92
	v_pack_b32_f16 v92, v55, v87
	ds_write_b32 v59, v93
	ds_write_b32 v59, v94 offset:1296
	ds_write_b32 v59, v95 offset:2592
	;; [unrolled: 1-line block ×3, first 2 shown]
	v_pack_b32_f16 v93, v46, v81
	v_pack_b32_f16 v94, v48, v85
	;; [unrolled: 1-line block ×7, first 2 shown]
	ds_write_b32 v59, v92 offset:5184
	ds_write_b32 v59, v93 offset:10368
	;; [unrolled: 1-line block ×8, first 2 shown]
	s_waitcnt lgkmcnt(0)
	s_barrier
	buffer_gl0_inv
	s_and_saveexec_b32 s1, vcc_lo
	s_cbranch_execz .LBB0_9
; %bb.8:
	v_add_co_u32 v96, s0, s14, v0
	v_add_co_ci_u32_e64 v97, null, s15, 0, s0
	v_add_co_u32 v92, s0, 0x3800, v96
	v_add_co_ci_u32_e64 v93, s0, 0, v97, s0
	global_load_dword v98, v[92:93], off offset:1216
	v_add_co_u32 v92, s0, 0x3cc0, v96
	v_add_co_ci_u32_e64 v93, s0, 0, v97, s0
	v_add_co_u32 v94, s0, 0x4800, v96
	v_add_co_ci_u32_e64 v95, s0, 0, v97, s0
	s_clause 0x3
	global_load_dword v99, v[92:93], off offset:972
	global_load_dword v100, v[92:93], off offset:1944
	global_load_dword v101, v[94:95], off offset:36
	global_load_dword v102, v[94:95], off offset:1008
	v_add_co_u32 v92, s0, 0x5000, v96
	v_add_co_ci_u32_e64 v93, s0, 0, v97, s0
	s_clause 0x2
	global_load_dword v103, v[94:95], off offset:1980
	global_load_dword v104, v[92:93], off offset:904
	global_load_dword v105, v[92:93], off offset:1876
	v_add_co_u32 v92, s0, 0x5800, v96
	v_add_co_ci_u32_e64 v93, s0, 0, v97, s0
	v_add_co_u32 v94, s0, 0x6000, v96
	v_add_co_ci_u32_e64 v95, s0, 0, v97, s0
	s_clause 0x3
	global_load_dword v106, v[92:93], off offset:800
	global_load_dword v107, v[92:93], off offset:1772
	;; [unrolled: 1-line block ×4, first 2 shown]
	v_add_co_u32 v92, s0, 0x6800, v96
	v_add_co_ci_u32_e64 v93, s0, 0, v97, s0
	v_add_co_u32 v94, s0, 0x7000, v96
	v_add_co_ci_u32_e64 v95, s0, 0, v97, s0
	global_load_dword v110, v[92:93], off offset:592
	ds_read_b32 v96, v59
	s_clause 0x2
	global_load_dword v97, v[92:93], off offset:1564
	global_load_dword v111, v[94:95], off offset:488
	;; [unrolled: 1-line block ×3, first 2 shown]
	s_waitcnt lgkmcnt(0)
	v_lshrrev_b32_e32 v92, 16, v96
	s_waitcnt vmcnt(15)
	v_mul_f16_sdwa v93, v92, v98 dst_sel:DWORD dst_unused:UNUSED_PAD src0_sel:DWORD src1_sel:WORD_1
	v_mul_f16_sdwa v95, v96, v98 dst_sel:DWORD dst_unused:UNUSED_PAD src0_sel:DWORD src1_sel:WORD_1
	v_fma_f16 v93, v96, v98, -v93
	v_fmac_f16_e32 v95, v92, v98
	v_pack_b32_f16 v92, v93, v95
	v_add_nc_u32_e32 v95, 0x3c0, v0
	ds_write_b32 v59, v92
	ds_read2_b32 v[92:93], v95 offset0:3 offset1:246
	ds_read_b32 v96, v0 offset:2916
	s_waitcnt lgkmcnt(1)
	v_lshrrev_b32_e32 v98, 16, v92
	s_waitcnt vmcnt(14)
	v_mul_f16_sdwa v112, v92, v99 dst_sel:DWORD dst_unused:UNUSED_PAD src0_sel:DWORD src1_sel:WORD_1
	v_lshrrev_b32_e32 v113, 16, v93
	s_waitcnt lgkmcnt(0)
	v_lshrrev_b32_e32 v115, 16, v96
	s_waitcnt vmcnt(13)
	v_mul_f16_sdwa v114, v93, v100 dst_sel:DWORD dst_unused:UNUSED_PAD src0_sel:DWORD src1_sel:WORD_1
	v_mul_f16_sdwa v117, v98, v99 dst_sel:DWORD dst_unused:UNUSED_PAD src0_sel:DWORD src1_sel:WORD_1
	v_fmac_f16_e32 v112, v98, v99
	v_mul_f16_sdwa v98, v113, v100 dst_sel:DWORD dst_unused:UNUSED_PAD src0_sel:DWORD src1_sel:WORD_1
	s_waitcnt vmcnt(12)
	v_mul_f16_sdwa v116, v96, v101 dst_sel:DWORD dst_unused:UNUSED_PAD src0_sel:DWORD src1_sel:WORD_1
	v_mul_f16_sdwa v118, v115, v101 dst_sel:DWORD dst_unused:UNUSED_PAD src0_sel:DWORD src1_sel:WORD_1
	v_fmac_f16_e32 v114, v113, v100
	v_fma_f16 v92, v92, v99, -v117
	v_fma_f16 v93, v93, v100, -v98
	v_fmac_f16_e32 v116, v115, v101
	v_fma_f16 v96, v96, v101, -v118
	v_pack_b32_f16 v92, v92, v112
	v_pack_b32_f16 v93, v93, v114
	v_pack_b32_f16 v96, v96, v116
	ds_write2_b32 v95, v92, v93 offset0:3 offset1:246
	ds_write_b32 v0, v96 offset:2916
	ds_read_b32 v92, v59 offset:3888
	s_waitcnt lgkmcnt(0)
	v_lshrrev_b32_e32 v93, 16, v92
	s_waitcnt vmcnt(11)
	v_mul_f16_sdwa v95, v92, v102 dst_sel:DWORD dst_unused:UNUSED_PAD src0_sel:DWORD src1_sel:WORD_1
	v_mul_f16_sdwa v96, v93, v102 dst_sel:DWORD dst_unused:UNUSED_PAD src0_sel:DWORD src1_sel:WORD_1
	v_fmac_f16_e32 v95, v93, v102
	v_fma_f16 v92, v92, v102, -v96
	v_pack_b32_f16 v92, v92, v95
	v_add_nc_u32_e32 v95, 0x12e0, v0
	ds_write_b32 v59, v92 offset:3888
	ds_read2_b32 v[92:93], v95 offset0:7 offset1:250
	ds_read_b32 v96, v0 offset:6804
	s_waitcnt lgkmcnt(1)
	v_lshrrev_b32_e32 v98, 16, v92
	s_waitcnt vmcnt(10)
	v_mul_f16_sdwa v99, v92, v103 dst_sel:DWORD dst_unused:UNUSED_PAD src0_sel:DWORD src1_sel:WORD_1
	v_lshrrev_b32_e32 v100, 16, v93
	s_waitcnt lgkmcnt(0)
	v_lshrrev_b32_e32 v102, 16, v96
	s_waitcnt vmcnt(9)
	v_mul_f16_sdwa v101, v93, v104 dst_sel:DWORD dst_unused:UNUSED_PAD src0_sel:DWORD src1_sel:WORD_1
	v_mul_f16_sdwa v113, v98, v103 dst_sel:DWORD dst_unused:UNUSED_PAD src0_sel:DWORD src1_sel:WORD_1
	v_fmac_f16_e32 v99, v98, v103
	v_mul_f16_sdwa v98, v100, v104 dst_sel:DWORD dst_unused:UNUSED_PAD src0_sel:DWORD src1_sel:WORD_1
	s_waitcnt vmcnt(8)
	v_mul_f16_sdwa v112, v96, v105 dst_sel:DWORD dst_unused:UNUSED_PAD src0_sel:DWORD src1_sel:WORD_1
	v_mul_f16_sdwa v114, v102, v105 dst_sel:DWORD dst_unused:UNUSED_PAD src0_sel:DWORD src1_sel:WORD_1
	v_fmac_f16_e32 v101, v100, v104
	v_fma_f16 v92, v92, v103, -v113
	v_fma_f16 v93, v93, v104, -v98
	v_fmac_f16_e32 v112, v102, v105
	v_fma_f16 v96, v96, v105, -v114
	v_pack_b32_f16 v92, v92, v99
	v_pack_b32_f16 v93, v93, v101
	v_pack_b32_f16 v96, v96, v112
	ds_write2_b32 v95, v92, v93 offset0:7 offset1:250
	ds_write_b32 v0, v96 offset:6804
	ds_read_b32 v92, v59 offset:7776
	s_waitcnt lgkmcnt(0)
	v_lshrrev_b32_e32 v93, 16, v92
	s_waitcnt vmcnt(7)
	v_mul_f16_sdwa v95, v92, v106 dst_sel:DWORD dst_unused:UNUSED_PAD src0_sel:DWORD src1_sel:WORD_1
	v_mul_f16_sdwa v96, v93, v106 dst_sel:DWORD dst_unused:UNUSED_PAD src0_sel:DWORD src1_sel:WORD_1
	v_fmac_f16_e32 v95, v93, v106
	v_fma_f16 v92, v92, v106, -v96
	v_pack_b32_f16 v92, v92, v95
	v_add_nc_u32_e32 v95, 0x2200, v0
	ds_write_b32 v59, v92 offset:7776
	;; [unrolled: 38-line block ×3, first 2 shown]
	ds_read2_b32 v[92:93], v95 offset0:7 offset1:250
	ds_read_b32 v96, v0 offset:14580
	s_waitcnt lgkmcnt(1)
	v_lshrrev_b32_e32 v98, 16, v92
	s_waitcnt vmcnt(2)
	v_mul_f16_sdwa v99, v92, v97 dst_sel:DWORD dst_unused:UNUSED_PAD src0_sel:DWORD src1_sel:WORD_1
	v_lshrrev_b32_e32 v100, 16, v93
	s_waitcnt lgkmcnt(0)
	v_lshrrev_b32_e32 v102, 16, v96
	s_waitcnt vmcnt(1)
	v_mul_f16_sdwa v101, v93, v111 dst_sel:DWORD dst_unused:UNUSED_PAD src0_sel:DWORD src1_sel:WORD_1
	v_mul_f16_sdwa v104, v98, v97 dst_sel:DWORD dst_unused:UNUSED_PAD src0_sel:DWORD src1_sel:WORD_1
	v_fmac_f16_e32 v99, v98, v97
	v_mul_f16_sdwa v98, v100, v111 dst_sel:DWORD dst_unused:UNUSED_PAD src0_sel:DWORD src1_sel:WORD_1
	s_waitcnt vmcnt(0)
	v_mul_f16_sdwa v103, v96, v94 dst_sel:DWORD dst_unused:UNUSED_PAD src0_sel:DWORD src1_sel:WORD_1
	v_mul_f16_sdwa v105, v102, v94 dst_sel:DWORD dst_unused:UNUSED_PAD src0_sel:DWORD src1_sel:WORD_1
	v_fmac_f16_e32 v101, v100, v111
	v_fma_f16 v92, v92, v97, -v104
	v_fma_f16 v93, v93, v111, -v98
	v_fmac_f16_e32 v103, v102, v94
	v_fma_f16 v94, v96, v94, -v105
	v_pack_b32_f16 v92, v92, v99
	v_pack_b32_f16 v93, v93, v101
	;; [unrolled: 1-line block ×3, first 2 shown]
	ds_write2_b32 v95, v92, v93 offset0:7 offset1:250
	ds_write_b32 v0, v94 offset:14580
.LBB0_9:
	s_or_b32 exec_lo, exec_lo, s1
	v_lshrrev_b32_e32 v68, 16, v68
	s_waitcnt lgkmcnt(0)
	s_barrier
	buffer_gl0_inv
	s_and_saveexec_b32 s0, vcc_lo
	s_cbranch_execz .LBB0_11
; %bb.10:
	v_add_nc_u32_e32 v10, 0x780, v59
	v_add_nc_u32_e32 v11, 0xf00, v59
	;; [unrolled: 1-line block ×4, first 2 shown]
	ds_read2_b32 v[54:55], v59 offset1:243
	ds_read2_b32 v[46:47], v10 offset0:6 offset1:249
	v_add_nc_u32_e32 v10, 0x1e40, v59
	ds_read2_b32 v[48:49], v11 offset0:12 offset1:255
	v_add_nc_u32_e32 v11, 0x25e0, v59
	;; [unrolled: 2-line block ×3, first 2 shown]
	ds_read2_b32 v[50:51], v10 offset0:8 offset1:251
	ds_read2_b32 v[52:53], v11 offset0:6 offset1:249
	ds_read2_b32 v[10:11], v12 offset0:4 offset1:247
	ds_read2_b32 v[12:13], v13 offset0:10 offset1:253
	s_waitcnt lgkmcnt(7)
	v_lshrrev_b32_e32 v83, 16, v54
	v_lshrrev_b32_e32 v87, 16, v55
	s_waitcnt lgkmcnt(6)
	v_lshrrev_b32_e32 v81, 16, v46
	v_lshrrev_b32_e32 v86, 16, v47
	;; [unrolled: 3-line block ×8, first 2 shown]
.LBB0_11:
	s_or_b32 exec_lo, exec_lo, s0
	s_barrier
	buffer_gl0_inv
	s_and_saveexec_b32 s0, vcc_lo
	s_cbranch_execz .LBB0_13
; %bb.12:
	v_sub_f16_e32 v67, v88, v67
	v_sub_f16_e32 v52, v46, v52
	;; [unrolled: 1-line block ×6, first 2 shown]
	v_add_f16_e32 v92, v67, v52
	v_sub_f16_e32 v84, v86, v84
	v_sub_f16_e32 v66, v89, v66
	;; [unrolled: 1-line block ×10, first 2 shown]
	v_fma_f16 v81, v81, 2.0, -v91
	v_fma_f16 v67, v88, 2.0, -v67
	v_add_f16_e32 v93, v68, v50
	v_add_f16_e32 v94, v66, v53
	;; [unrolled: 1-line block ×3, first 2 shown]
	v_sub_f16_e32 v96, v91, v12
	v_sub_f16_e32 v98, v84, v13
	v_sub_f16_e32 v99, v90, v11
	v_sub_f16_e32 v102, v82, v10
	v_fma_f16 v10, v48, 2.0, -v10
	v_sub_f16_e32 v48, v81, v67
	v_fma_f16 v67, v87, 2.0, -v90
	v_fma_f16 v11, v49, 2.0, -v11
	;; [unrolled: 1-line block ×9, first 2 shown]
	v_fmamk_f16 v97, v92, 0x39a8, v93
	v_fmamk_f16 v100, v94, 0x39a8, v95
	;; [unrolled: 1-line block ×4, first 2 shown]
	v_fma_f16 v54, v54, 2.0, -v50
	v_fma_f16 v86, v86, 2.0, -v84
	;; [unrolled: 1-line block ×4, first 2 shown]
	v_sub_f16_e32 v49, v67, v49
	v_sub_f16_e32 v13, v47, v13
	;; [unrolled: 1-line block ×3, first 2 shown]
	v_fma_f16 v50, v50, 2.0, -v93
	v_fma_f16 v52, v52, 2.0, -v92
	v_sub_f16_e32 v12, v46, v12
	v_fmac_f16_e32 v97, 0x39a8, v96
	v_fmac_f16_e32 v100, 0x39a8, v98
	;; [unrolled: 1-line block ×4, first 2 shown]
	v_sub_f16_e32 v10, v54, v10
	v_sub_f16_e32 v57, v86, v66
	;; [unrolled: 1-line block ×4, first 2 shown]
	v_fma_f16 v56, v91, 2.0, -v96
	v_fma_f16 v89, v90, 2.0, -v99
	;; [unrolled: 1-line block ×4, first 2 shown]
	v_fmamk_f16 v90, v52, 0xb9a8, v50
	v_sub_f16_e32 v96, v68, v12
	v_fmamk_f16 v103, v100, 0x3b64, v97
	v_add_f16_e32 v66, v48, v10
	v_add_f16_e32 v80, v57, v11
	v_fma_f16 v53, v53, 2.0, -v94
	v_fma_f16 v51, v51, 2.0, -v95
	v_fmamk_f16 v91, v84, 0xb9a8, v89
	v_fmamk_f16 v94, v56, 0xb9a8, v82
	v_fmac_f16_e32 v90, 0x39a8, v56
	v_fmamk_f16 v56, v87, 0x39a8, v96
	v_fma_f16 v48, v81, 2.0, -v48
	v_fma_f16 v81, v95, 2.0, -v100
	;; [unrolled: 1-line block ×4, first 2 shown]
	v_fmac_f16_e32 v103, 0x361f, v101
	v_fmamk_f16 v88, v80, 0x39a8, v66
	v_fmamk_f16 v92, v53, 0xb9a8, v51
	v_fmac_f16_e32 v91, 0xb9a8, v53
	v_fma_f16 v53, v54, 2.0, -v10
	v_fma_f16 v12, v46, 2.0, -v12
	;; [unrolled: 1-line block ×4, first 2 shown]
	v_fmac_f16_e32 v56, 0xb9a8, v80
	v_fma_f16 v83, v83, 2.0, -v68
	v_fma_f16 v55, v55, 2.0, -v11
	;; [unrolled: 1-line block ×6, first 2 shown]
	v_fmamk_f16 v80, v95, 0xb61f, v99
	v_fma_f16 v49, v49, 2.0, -v87
	v_fma_f16 v68, v68, 2.0, -v96
	;; [unrolled: 1-line block ×3, first 2 shown]
	v_fmac_f16_e32 v92, 0x39a8, v84
	v_fmac_f16_e32 v94, 0xb9a8, v52
	;; [unrolled: 1-line block ×3, first 2 shown]
	v_sub_f16_e32 v12, v53, v12
	v_sub_f16_e32 v54, v46, v54
	;; [unrolled: 1-line block ×4, first 2 shown]
	v_fmamk_f16 v97, v81, 0xb61f, v47
	v_fmamk_f16 v87, v11, 0xb9a8, v10
	v_fmac_f16_e32 v80, 0xbb64, v81
	v_fmamk_f16 v81, v49, 0xb9a8, v68
	v_fma_f16 v57, v66, 2.0, -v88
	v_add_f16_e32 v106, v54, v12
	v_sub_f16_e32 v66, v48, v13
	v_fmac_f16_e32 v87, 0x39a8, v49
	v_fma_f16 v49, v50, 2.0, -v90
	v_fma_f16 v50, v51, 2.0, -v92
	v_fmac_f16_e32 v81, 0xb9a8, v11
	v_fma_f16 v11, v89, 2.0, -v91
	v_fma_f16 v82, v82, 2.0, -v94
	;; [unrolled: 1-line block ×3, first 2 shown]
	v_fmac_f16_e32 v97, 0x3b64, v95
	v_fma_f16 v95, v48, 2.0, -v66
	v_fmamk_f16 v89, v50, 0xbb64, v49
	v_fma_f16 v12, v53, 2.0, -v12
	v_fma_f16 v13, v55, 2.0, -v13
	v_fma_f16 v48, v83, 2.0, -v48
	v_fma_f16 v46, v46, 2.0, -v54
	v_fmamk_f16 v54, v11, 0xbb64, v82
	v_fmamk_f16 v65, v101, 0x3b64, v104
	;; [unrolled: 1-line block ×4, first 2 shown]
	v_fma_f16 v53, v68, 2.0, -v81
	v_fmac_f16_e32 v89, 0x361f, v11
	v_sub_f16_e32 v55, v12, v13
	v_sub_f16_e32 v68, v48, v46
	v_fmac_f16_e32 v54, 0xb61f, v50
	v_fmac_f16_e32 v65, 0xb61f, v100
	;; [unrolled: 1-line block ×4, first 2 shown]
	v_fma_f16 v47, v47, 2.0, -v97
	v_fma_f16 v51, v99, 2.0, -v80
	;; [unrolled: 1-line block ×3, first 2 shown]
	v_mov_b32_e32 v11, 2
	v_fma_f16 v46, v49, 2.0, -v89
	v_fma_f16 v49, v12, 2.0, -v55
	;; [unrolled: 1-line block ×8, first 2 shown]
	v_lshlrev_b32_sdwa v60, v11, v60 dst_sel:DWORD dst_unused:UNUSED_PAD src0_sel:DWORD src1_sel:WORD_0
	v_pack_b32_f16 v13, v47, v51
	v_pack_b32_f16 v12, v10, v53
	;; [unrolled: 1-line block ×16, first 2 shown]
	ds_write_b128 v60, v[10:13]
	ds_write_b128 v60, v[46:49] offset:16
	ds_write_b128 v60, v[50:53] offset:32
	;; [unrolled: 1-line block ×3, first 2 shown]
.LBB0_13:
	s_or_b32 exec_lo, exec_lo, s0
	s_waitcnt lgkmcnt(0)
	s_barrier
	buffer_gl0_inv
	ds_read_b32 v10, v59
	ds_read_b32 v11, v59 offset:10368
	ds_read_b32 v12, v59 offset:5184
	;; [unrolled: 1-line block ×11, first 2 shown]
	s_waitcnt lgkmcnt(0)
	s_barrier
	buffer_gl0_inv
	v_lshrrev_b32_e32 v54, 16, v10
	v_lshrrev_b32_e32 v56, 16, v11
	;; [unrolled: 1-line block ×4, first 2 shown]
	v_mul_f16_sdwa v83, v2, v12 dst_sel:DWORD dst_unused:UNUSED_PAD src0_sel:WORD_1 src1_sel:DWORD
	v_lshrrev_b32_e32 v57, 16, v46
	v_lshrrev_b32_e32 v65, 16, v48
	v_mul_f16_sdwa v81, v2, v55 dst_sel:DWORD dst_unused:UNUSED_PAD src0_sel:WORD_1 src1_sel:DWORD
	v_mul_f16_sdwa v85, v3, v56 dst_sel:DWORD dst_unused:UNUSED_PAD src0_sel:WORD_1 src1_sel:DWORD
	v_lshrrev_b32_e32 v67, 16, v50
	v_lshrrev_b32_e32 v68, 16, v49
	;; [unrolled: 1-line block ×3, first 2 shown]
	v_fmac_f16_e32 v81, v2, v12
	v_mul_f16_sdwa v12, v3, v11 dst_sel:DWORD dst_unused:UNUSED_PAD src0_sel:WORD_1 src1_sel:DWORD
	v_fma_f16 v2, v2, v55, -v83
	v_mul_f16_sdwa v55, v8, v60 dst_sel:DWORD dst_unused:UNUSED_PAD src0_sel:WORD_1 src1_sel:DWORD
	v_fmac_f16_e32 v85, v3, v11
	v_mul_f16_sdwa v11, v8, v13 dst_sel:DWORD dst_unused:UNUSED_PAD src0_sel:WORD_1 src1_sel:DWORD
	v_fma_f16 v3, v3, v56, -v12
	v_mul_f16_sdwa v12, v9, v65 dst_sel:DWORD dst_unused:UNUSED_PAD src0_sel:WORD_1 src1_sel:DWORD
	;; [unrolled: 4-line block ×4, first 2 shown]
	v_lshrrev_b32_e32 v84, 16, v53
	v_fmac_f16_e32 v11, v6, v50
	v_mul_f16_sdwa v50, v7, v49 dst_sel:DWORD dst_unused:UNUSED_PAD src0_sel:WORD_1 src1_sel:DWORD
	v_fma_f16 v6, v6, v67, -v48
	v_mul_f16_sdwa v48, v4, v82 dst_sel:DWORD dst_unused:UNUSED_PAD src0_sel:WORD_1 src1_sel:DWORD
	v_fmac_f16_e32 v13, v7, v49
	v_mul_f16_sdwa v49, v4, v51 dst_sel:DWORD dst_unused:UNUSED_PAD src0_sel:WORD_1 src1_sel:DWORD
	v_fma_f16 v7, v7, v68, -v50
	v_mul_f16_sdwa v50, v5, v84 dst_sel:DWORD dst_unused:UNUSED_PAD src0_sel:WORD_1 src1_sel:DWORD
	v_fmac_f16_e32 v48, v4, v51
	v_mul_f16_sdwa v51, v5, v53 dst_sel:DWORD dst_unused:UNUSED_PAD src0_sel:WORD_1 src1_sel:DWORD
	v_fma_f16 v4, v4, v82, -v49
	v_add_f16_e32 v49, v81, v85
	v_fmac_f16_e32 v50, v5, v53
	v_add_f16_e32 v53, v10, v81
	v_fma_f16 v5, v5, v84, -v51
	v_add_f16_e32 v51, v2, v3
	v_fmac_f16_e32 v10, -0.5, v49
	v_sub_f16_e32 v49, v2, v3
	v_add_f16_e32 v2, v54, v2
	v_add_f16_e32 v60, v46, v55
	v_fmac_f16_e32 v54, -0.5, v51
	v_sub_f16_e32 v51, v81, v85
	v_fmamk_f16 v56, v49, 0xbaee, v10
	v_add_f16_e32 v2, v2, v3
	v_add_f16_e32 v3, v55, v12
	v_fmac_f16_e32 v10, 0x3aee, v49
	v_fmamk_f16 v49, v51, 0x3aee, v54
	v_fmac_f16_e32 v54, 0xbaee, v51
	v_add_f16_e32 v51, v8, v9
	v_fmac_f16_e32 v46, -0.5, v3
	v_sub_f16_e32 v3, v8, v9
	v_add_f16_e32 v8, v57, v8
	v_add_f16_e32 v60, v60, v12
	v_fmac_f16_e32 v57, -0.5, v51
	v_sub_f16_e32 v12, v55, v12
	v_lshrrev_b32_e32 v66, 16, v47
	v_fmamk_f16 v51, v3, 0xbaee, v46
	v_fmac_f16_e32 v46, 0x3aee, v3
	v_add_f16_e32 v3, v8, v9
	v_add_f16_e32 v8, v11, v13
	v_fmamk_f16 v9, v12, 0x3aee, v57
	v_fmac_f16_e32 v57, 0xbaee, v12
	v_add_f16_e32 v12, v6, v7
	v_add_f16_e32 v55, v47, v11
	v_fmac_f16_e32 v47, -0.5, v8
	v_sub_f16_e32 v8, v6, v7
	v_add_f16_e32 v6, v66, v6
	v_fmac_f16_e32 v66, -0.5, v12
	v_sub_f16_e32 v11, v11, v13
	v_lshrrev_b32_e32 v80, 16, v52
	v_fmamk_f16 v12, v8, 0xbaee, v47
	v_add_f16_e32 v6, v6, v7
	v_add_f16_e32 v7, v48, v50
	v_fmac_f16_e32 v47, 0x3aee, v8
	v_fmamk_f16 v8, v11, 0x3aee, v66
	v_fmac_f16_e32 v66, 0xbaee, v11
	v_add_f16_e32 v11, v4, v5
	v_add_f16_e32 v53, v53, v85
	;; [unrolled: 1-line block ×4, first 2 shown]
	v_fmac_f16_e32 v52, -0.5, v7
	v_sub_f16_e32 v7, v4, v5
	v_add_f16_e32 v4, v80, v4
	v_fmac_f16_e32 v80, -0.5, v11
	v_sub_f16_e32 v11, v48, v50
	v_pack_b32_f16 v2, v53, v2
	v_fmamk_f16 v48, v7, 0xbaee, v52
	v_fmac_f16_e32 v52, 0x3aee, v7
	v_pack_b32_f16 v7, v56, v49
	v_pack_b32_f16 v10, v10, v54
	;; [unrolled: 1-line block ×4, first 2 shown]
	v_add_f16_e32 v13, v13, v50
	v_add_f16_e32 v4, v4, v5
	v_fmamk_f16 v5, v11, 0x3aee, v80
	v_fmac_f16_e32 v80, 0xbaee, v11
	ds_write2_b32 v64, v2, v7 offset1:16
	ds_write_b32 v64, v10 offset:128
	ds_write2_b32 v62, v3, v9 offset1:16
	v_pack_b32_f16 v2, v46, v57
	v_pack_b32_f16 v3, v55, v6
	;; [unrolled: 1-line block ×7, first 2 shown]
	ds_write_b32 v62, v2 offset:128
	ds_write2_b32 v61, v3, v6 offset1:16
	ds_write_b32 v61, v7 offset:128
	ds_write2_b32 v63, v4, v5 offset1:16
	ds_write_b32 v63, v8 offset:128
	s_waitcnt lgkmcnt(0)
	s_barrier
	buffer_gl0_inv
	ds_read_b32 v2, v59
	ds_read_b32 v3, v59 offset:10368
	ds_read_b32 v4, v59 offset:5184
	;; [unrolled: 1-line block ×11, first 2 shown]
	s_waitcnt lgkmcnt(0)
	s_barrier
	buffer_gl0_inv
	v_lshrrev_b32_e32 v46, 16, v2
	v_lshrrev_b32_e32 v48, 16, v3
	;; [unrolled: 1-line block ×4, first 2 shown]
	v_mul_f16_sdwa v60, v20, v4 dst_sel:DWORD dst_unused:UNUSED_PAD src0_sel:WORD_1 src1_sel:DWORD
	v_lshrrev_b32_e32 v49, 16, v6
	v_lshrrev_b32_e32 v51, 16, v8
	v_mul_f16_sdwa v56, v20, v47 dst_sel:DWORD dst_unused:UNUSED_PAD src0_sel:WORD_1 src1_sel:DWORD
	v_mul_f16_sdwa v62, v21, v48 dst_sel:DWORD dst_unused:UNUSED_PAD src0_sel:WORD_1 src1_sel:DWORD
	v_lshrrev_b32_e32 v53, 16, v10
	v_lshrrev_b32_e32 v54, 16, v9
	;; [unrolled: 1-line block ×3, first 2 shown]
	v_fmac_f16_e32 v56, v20, v4
	v_mul_f16_sdwa v4, v21, v3 dst_sel:DWORD dst_unused:UNUSED_PAD src0_sel:WORD_1 src1_sel:DWORD
	v_fma_f16 v20, v20, v47, -v60
	v_mul_f16_sdwa v47, v18, v50 dst_sel:DWORD dst_unused:UNUSED_PAD src0_sel:WORD_1 src1_sel:DWORD
	v_fmac_f16_e32 v62, v21, v3
	v_mul_f16_sdwa v3, v18, v5 dst_sel:DWORD dst_unused:UNUSED_PAD src0_sel:WORD_1 src1_sel:DWORD
	v_fma_f16 v4, v21, v48, -v4
	v_mul_f16_sdwa v21, v19, v51 dst_sel:DWORD dst_unused:UNUSED_PAD src0_sel:WORD_1 src1_sel:DWORD
	;; [unrolled: 4-line block ×4, first 2 shown]
	v_lshrrev_b32_e32 v61, 16, v13
	v_fmac_f16_e32 v18, v16, v10
	v_mul_f16_sdwa v10, v17, v9 dst_sel:DWORD dst_unused:UNUSED_PAD src0_sel:WORD_1 src1_sel:DWORD
	v_fma_f16 v8, v16, v53, -v8
	v_mul_f16_sdwa v16, v14, v57 dst_sel:DWORD dst_unused:UNUSED_PAD src0_sel:WORD_1 src1_sel:DWORD
	v_fmac_f16_e32 v19, v17, v9
	v_mul_f16_sdwa v9, v14, v11 dst_sel:DWORD dst_unused:UNUSED_PAD src0_sel:WORD_1 src1_sel:DWORD
	v_fma_f16 v10, v17, v54, -v10
	v_mul_f16_sdwa v17, v15, v61 dst_sel:DWORD dst_unused:UNUSED_PAD src0_sel:WORD_1 src1_sel:DWORD
	v_fmac_f16_e32 v16, v14, v11
	v_mul_f16_sdwa v11, v15, v13 dst_sel:DWORD dst_unused:UNUSED_PAD src0_sel:WORD_1 src1_sel:DWORD
	v_fma_f16 v9, v14, v57, -v9
	v_add_f16_e32 v14, v56, v62
	v_fmac_f16_e32 v17, v15, v13
	v_add_f16_e32 v13, v2, v56
	v_fma_f16 v11, v15, v61, -v11
	v_add_f16_e32 v15, v20, v4
	v_fmac_f16_e32 v2, -0.5, v14
	v_sub_f16_e32 v14, v20, v4
	v_add_f16_e32 v20, v46, v20
	v_add_f16_e32 v50, v6, v47
	v_fmac_f16_e32 v46, -0.5, v15
	v_sub_f16_e32 v15, v56, v62
	v_fmamk_f16 v48, v14, 0xbaee, v2
	v_fmac_f16_e32 v2, 0x3aee, v14
	v_add_f16_e32 v14, v47, v21
	v_add_f16_e32 v4, v20, v4
	v_fmamk_f16 v20, v15, 0x3aee, v46
	v_fmac_f16_e32 v46, 0xbaee, v15
	v_add_f16_e32 v15, v3, v5
	v_fmac_f16_e32 v6, -0.5, v14
	v_sub_f16_e32 v14, v3, v5
	v_add_f16_e32 v3, v49, v3
	v_lshrrev_b32_e32 v52, 16, v7
	v_fmac_f16_e32 v49, -0.5, v15
	v_sub_f16_e32 v15, v47, v21
	v_add_f16_e32 v50, v50, v21
	v_add_f16_e32 v3, v3, v5
	;; [unrolled: 1-line block ×3, first 2 shown]
	v_fmamk_f16 v21, v14, 0xbaee, v6
	v_fmac_f16_e32 v6, 0x3aee, v14
	v_fmamk_f16 v14, v15, 0x3aee, v49
	v_fmac_f16_e32 v49, 0xbaee, v15
	v_add_f16_e32 v15, v8, v10
	v_add_f16_e32 v47, v7, v18
	v_fmac_f16_e32 v7, -0.5, v5
	v_sub_f16_e32 v5, v8, v10
	v_add_f16_e32 v8, v52, v8
	v_fmac_f16_e32 v52, -0.5, v15
	v_sub_f16_e32 v15, v18, v19
	v_lshrrev_b32_e32 v55, 16, v12
	v_fmamk_f16 v18, v5, 0xbaee, v7
	v_fmac_f16_e32 v7, 0x3aee, v5
	v_add_f16_e32 v5, v8, v10
	v_add_f16_e32 v8, v16, v17
	v_fmamk_f16 v10, v15, 0x3aee, v52
	v_fmac_f16_e32 v52, 0xbaee, v15
	v_add_f16_e32 v15, v9, v11
	v_add_f16_e32 v13, v13, v62
	;; [unrolled: 1-line block ×4, first 2 shown]
	v_fmac_f16_e32 v12, -0.5, v8
	v_sub_f16_e32 v8, v9, v11
	v_add_f16_e32 v9, v55, v9
	v_fmac_f16_e32 v55, -0.5, v15
	v_sub_f16_e32 v15, v16, v17
	v_add_f16_e32 v16, v19, v17
	v_fmamk_f16 v17, v8, 0xbaee, v12
	v_fmac_f16_e32 v12, 0x3aee, v8
	v_add_f16_e32 v8, v9, v11
	v_pack_b32_f16 v4, v13, v4
	v_pack_b32_f16 v11, v48, v20
	;; [unrolled: 1-line block ×5, first 2 shown]
	v_fmamk_f16 v9, v15, 0x3aee, v55
	v_fmac_f16_e32 v55, 0xbaee, v15
	ds_write2_b32 v72, v4, v11 offset1:48
	ds_write_b32 v72, v2 offset:384
	ds_write2_b32 v71, v3, v13 offset1:48
	v_pack_b32_f16 v2, v6, v49
	v_pack_b32_f16 v3, v47, v5
	v_pack_b32_f16 v4, v18, v10
	v_pack_b32_f16 v5, v7, v52
	v_pack_b32_f16 v6, v16, v8
	v_pack_b32_f16 v7, v17, v9
	v_pack_b32_f16 v8, v12, v55
	ds_write_b32 v71, v2 offset:384
	ds_write2_b32 v69, v3, v4 offset1:48
	ds_write_b32 v69, v5 offset:384
	ds_write2_b32 v70, v6, v7 offset1:48
	ds_write_b32 v70, v8 offset:384
	s_waitcnt lgkmcnt(0)
	s_barrier
	buffer_gl0_inv
	ds_read_b32 v2, v59
	ds_read_b32 v3, v59 offset:10368
	ds_read_b32 v4, v59 offset:5184
	;; [unrolled: 1-line block ×11, first 2 shown]
	s_waitcnt lgkmcnt(0)
	s_barrier
	buffer_gl0_inv
	v_lshrrev_b32_e32 v14, 16, v2
	v_lshrrev_b32_e32 v16, 16, v3
	;; [unrolled: 1-line block ×4, first 2 shown]
	v_mul_f16_sdwa v50, v28, v4 dst_sel:DWORD dst_unused:UNUSED_PAD src0_sel:WORD_1 src1_sel:DWORD
	v_lshrrev_b32_e32 v17, 16, v6
	v_lshrrev_b32_e32 v19, 16, v8
	v_mul_f16_sdwa v48, v28, v15 dst_sel:DWORD dst_unused:UNUSED_PAD src0_sel:WORD_1 src1_sel:DWORD
	v_mul_f16_sdwa v52, v29, v16 dst_sel:DWORD dst_unused:UNUSED_PAD src0_sel:WORD_1 src1_sel:DWORD
	v_fma_f16 v15, v28, v15, -v50
	v_lshrrev_b32_e32 v21, 16, v10
	v_lshrrev_b32_e32 v46, 16, v9
	v_fmac_f16_e32 v48, v28, v4
	v_mul_f16_sdwa v4, v29, v3 dst_sel:DWORD dst_unused:UNUSED_PAD src0_sel:WORD_1 src1_sel:DWORD
	v_mul_f16_sdwa v28, v26, v18 dst_sel:DWORD dst_unused:UNUSED_PAD src0_sel:WORD_1 src1_sel:DWORD
	v_fmac_f16_e32 v52, v29, v3
	v_mul_f16_sdwa v3, v26, v5 dst_sel:DWORD dst_unused:UNUSED_PAD src0_sel:WORD_1 src1_sel:DWORD
	v_lshrrev_b32_e32 v49, 16, v11
	v_fma_f16 v4, v29, v16, -v4
	v_mul_f16_sdwa v16, v27, v19 dst_sel:DWORD dst_unused:UNUSED_PAD src0_sel:WORD_1 src1_sel:DWORD
	v_fmac_f16_e32 v28, v26, v5
	v_mul_f16_sdwa v5, v27, v8 dst_sel:DWORD dst_unused:UNUSED_PAD src0_sel:WORD_1 src1_sel:DWORD
	v_fma_f16 v3, v26, v18, -v3
	v_mul_f16_sdwa v18, v24, v21 dst_sel:DWORD dst_unused:UNUSED_PAD src0_sel:WORD_1 src1_sel:DWORD
	v_fmac_f16_e32 v16, v27, v8
	v_mul_f16_sdwa v8, v24, v10 dst_sel:DWORD dst_unused:UNUSED_PAD src0_sel:WORD_1 src1_sel:DWORD
	v_fma_f16 v5, v27, v19, -v5
	v_mul_f16_sdwa v19, v25, v46 dst_sel:DWORD dst_unused:UNUSED_PAD src0_sel:WORD_1 src1_sel:DWORD
	v_lshrrev_b32_e32 v51, 16, v13
	v_fmac_f16_e32 v18, v24, v10
	v_fma_f16 v8, v24, v21, -v8
	v_mul_f16_sdwa v21, v22, v49 dst_sel:DWORD dst_unused:UNUSED_PAD src0_sel:WORD_1 src1_sel:DWORD
	v_mul_f16_sdwa v10, v25, v9 dst_sel:DWORD dst_unused:UNUSED_PAD src0_sel:WORD_1 src1_sel:DWORD
	v_fmac_f16_e32 v19, v25, v9
	v_mul_f16_sdwa v9, v22, v11 dst_sel:DWORD dst_unused:UNUSED_PAD src0_sel:WORD_1 src1_sel:DWORD
	v_mul_f16_sdwa v24, v23, v51 dst_sel:DWORD dst_unused:UNUSED_PAD src0_sel:WORD_1 src1_sel:DWORD
	v_fmac_f16_e32 v21, v22, v11
	v_mul_f16_sdwa v11, v23, v13 dst_sel:DWORD dst_unused:UNUSED_PAD src0_sel:WORD_1 src1_sel:DWORD
	v_fma_f16 v10, v25, v46, -v10
	v_fma_f16 v9, v22, v49, -v9
	v_add_f16_e32 v22, v48, v52
	v_fmac_f16_e32 v24, v23, v13
	v_fma_f16 v11, v23, v51, -v11
	v_add_f16_e32 v23, v15, v4
	v_add_f16_e32 v13, v2, v48
	v_fmac_f16_e32 v2, -0.5, v22
	v_sub_f16_e32 v22, v15, v4
	v_add_f16_e32 v15, v14, v15
	v_fmac_f16_e32 v14, -0.5, v23
	v_sub_f16_e32 v23, v48, v52
	v_add_f16_e32 v26, v6, v28
	v_fmamk_f16 v25, v22, 0xbaee, v2
	v_add_f16_e32 v4, v15, v4
	v_add_f16_e32 v15, v28, v16
	v_fmac_f16_e32 v2, 0x3aee, v22
	v_fmamk_f16 v22, v23, 0x3aee, v14
	v_fmac_f16_e32 v14, 0xbaee, v23
	v_add_f16_e32 v23, v3, v5
	v_fmac_f16_e32 v6, -0.5, v15
	v_sub_f16_e32 v15, v3, v5
	v_add_f16_e32 v3, v17, v3
	v_add_f16_e32 v26, v26, v16
	v_fmac_f16_e32 v17, -0.5, v23
	v_sub_f16_e32 v16, v28, v16
	v_lshrrev_b32_e32 v20, 16, v7
	v_add_f16_e32 v3, v3, v5
	v_add_f16_e32 v5, v18, v19
	v_fmamk_f16 v23, v15, 0xbaee, v6
	v_fmac_f16_e32 v6, 0x3aee, v15
	v_fmamk_f16 v15, v16, 0x3aee, v17
	v_fmac_f16_e32 v17, 0xbaee, v16
	v_add_f16_e32 v16, v8, v10
	v_add_f16_e32 v27, v7, v18
	v_fmac_f16_e32 v7, -0.5, v5
	v_sub_f16_e32 v5, v8, v10
	v_add_f16_e32 v8, v20, v8
	v_fmac_f16_e32 v20, -0.5, v16
	v_sub_f16_e32 v16, v18, v19
	v_lshrrev_b32_e32 v47, 16, v12
	v_fmamk_f16 v18, v5, 0xbaee, v7
	v_fmac_f16_e32 v7, 0x3aee, v5
	v_add_f16_e32 v5, v8, v10
	v_add_f16_e32 v8, v21, v24
	v_fmamk_f16 v10, v16, 0x3aee, v20
	v_fmac_f16_e32 v20, 0xbaee, v16
	v_add_f16_e32 v16, v9, v11
	v_add_f16_e32 v13, v13, v52
	;; [unrolled: 1-line block ×4, first 2 shown]
	v_fmac_f16_e32 v12, -0.5, v8
	v_sub_f16_e32 v8, v9, v11
	v_add_f16_e32 v9, v47, v9
	v_fmac_f16_e32 v47, -0.5, v16
	v_sub_f16_e32 v16, v21, v24
	v_pack_b32_f16 v4, v13, v4
	v_fmamk_f16 v21, v8, 0xbaee, v12
	v_fmac_f16_e32 v12, 0x3aee, v8
	v_add_f16_e32 v8, v9, v11
	v_pack_b32_f16 v11, v25, v22
	v_pack_b32_f16 v2, v2, v14
	;; [unrolled: 1-line block ×4, first 2 shown]
	v_add_f16_e32 v19, v19, v24
	v_fmamk_f16 v9, v16, 0x3aee, v47
	v_fmac_f16_e32 v47, 0xbaee, v16
	ds_write2_b32 v73, v4, v11 offset1:144
	ds_write_b32 v73, v2 offset:1152
	ds_write2_b32 v76, v3, v13 offset1:144
	v_pack_b32_f16 v2, v6, v17
	v_pack_b32_f16 v3, v27, v5
	;; [unrolled: 1-line block ×7, first 2 shown]
	ds_write_b32 v76, v2 offset:1152
	ds_write2_b32 v75, v3, v4 offset1:144
	ds_write_b32 v75, v5 offset:1152
	ds_write2_b32 v74, v6, v7 offset1:144
	ds_write_b32 v74, v8 offset:1152
	s_waitcnt lgkmcnt(0)
	s_barrier
	buffer_gl0_inv
	ds_read_b32 v2, v59
	ds_read_b32 v3, v59 offset:10368
	ds_read_b32 v4, v59 offset:5184
	;; [unrolled: 1-line block ×11, first 2 shown]
	s_waitcnt lgkmcnt(0)
	s_barrier
	buffer_gl0_inv
	v_lshrrev_b32_e32 v14, 16, v2
	v_lshrrev_b32_e32 v16, 16, v3
	;; [unrolled: 1-line block ×4, first 2 shown]
	v_mul_f16_sdwa v26, v36, v4 dst_sel:DWORD dst_unused:UNUSED_PAD src0_sel:WORD_1 src1_sel:DWORD
	v_lshrrev_b32_e32 v17, 16, v6
	v_lshrrev_b32_e32 v19, 16, v8
	v_mul_f16_sdwa v24, v36, v15 dst_sel:DWORD dst_unused:UNUSED_PAD src0_sel:WORD_1 src1_sel:DWORD
	v_mul_f16_sdwa v28, v37, v16 dst_sel:DWORD dst_unused:UNUSED_PAD src0_sel:WORD_1 src1_sel:DWORD
	v_fma_f16 v15, v36, v15, -v26
	v_mul_f16_sdwa v26, v34, v18 dst_sel:DWORD dst_unused:UNUSED_PAD src0_sel:WORD_1 src1_sel:DWORD
	v_lshrrev_b32_e32 v21, 16, v10
	v_fmac_f16_e32 v24, v36, v4
	v_mul_f16_sdwa v4, v37, v3 dst_sel:DWORD dst_unused:UNUSED_PAD src0_sel:WORD_1 src1_sel:DWORD
	v_lshrrev_b32_e32 v22, 16, v9
	v_fmac_f16_e32 v28, v37, v3
	v_mul_f16_sdwa v3, v34, v5 dst_sel:DWORD dst_unused:UNUSED_PAD src0_sel:WORD_1 src1_sel:DWORD
	v_fmac_f16_e32 v26, v34, v5
	v_fma_f16 v4, v37, v16, -v4
	v_mul_f16_sdwa v16, v35, v19 dst_sel:DWORD dst_unused:UNUSED_PAD src0_sel:WORD_1 src1_sel:DWORD
	v_mul_f16_sdwa v5, v35, v8 dst_sel:DWORD dst_unused:UNUSED_PAD src0_sel:WORD_1 src1_sel:DWORD
	v_lshrrev_b32_e32 v25, 16, v11
	v_fma_f16 v3, v34, v18, -v3
	v_mul_f16_sdwa v18, v32, v21 dst_sel:DWORD dst_unused:UNUSED_PAD src0_sel:WORD_1 src1_sel:DWORD
	v_fmac_f16_e32 v16, v35, v8
	v_mul_f16_sdwa v8, v32, v10 dst_sel:DWORD dst_unused:UNUSED_PAD src0_sel:WORD_1 src1_sel:DWORD
	v_fma_f16 v5, v35, v19, -v5
	v_mul_f16_sdwa v19, v33, v22 dst_sel:DWORD dst_unused:UNUSED_PAD src0_sel:WORD_1 src1_sel:DWORD
	v_lshrrev_b32_e32 v27, 16, v13
	v_fmac_f16_e32 v18, v32, v10
	v_mul_f16_sdwa v10, v33, v9 dst_sel:DWORD dst_unused:UNUSED_PAD src0_sel:WORD_1 src1_sel:DWORD
	v_fma_f16 v8, v32, v21, -v8
	v_mul_f16_sdwa v21, v30, v25 dst_sel:DWORD dst_unused:UNUSED_PAD src0_sel:WORD_1 src1_sel:DWORD
	v_fmac_f16_e32 v19, v33, v9
	v_mul_f16_sdwa v9, v30, v11 dst_sel:DWORD dst_unused:UNUSED_PAD src0_sel:WORD_1 src1_sel:DWORD
	v_fma_f16 v10, v33, v22, -v10
	v_mul_f16_sdwa v22, v31, v27 dst_sel:DWORD dst_unused:UNUSED_PAD src0_sel:WORD_1 src1_sel:DWORD
	v_fmac_f16_e32 v21, v30, v11
	v_mul_f16_sdwa v11, v31, v13 dst_sel:DWORD dst_unused:UNUSED_PAD src0_sel:WORD_1 src1_sel:DWORD
	v_fma_f16 v9, v30, v25, -v9
	v_add_f16_e32 v25, v24, v28
	v_fmac_f16_e32 v22, v31, v13
	v_add_f16_e32 v13, v2, v24
	v_fma_f16 v11, v31, v27, -v11
	v_add_f16_e32 v27, v15, v4
	v_fmac_f16_e32 v2, -0.5, v25
	v_sub_f16_e32 v25, v15, v4
	v_add_f16_e32 v15, v14, v15
	v_sub_f16_e32 v24, v24, v28
	v_fmac_f16_e32 v14, -0.5, v27
	v_add_f16_e32 v13, v13, v28
	v_fmamk_f16 v27, v25, 0xbaee, v2
	v_add_f16_e32 v4, v15, v4
	v_add_f16_e32 v15, v26, v16
	v_fmac_f16_e32 v2, 0x3aee, v25
	v_fmamk_f16 v25, v24, 0x3aee, v14
	v_add_f16_e32 v28, v6, v26
	v_fmac_f16_e32 v14, 0xbaee, v24
	v_add_f16_e32 v24, v3, v5
	v_fmac_f16_e32 v6, -0.5, v15
	v_sub_f16_e32 v15, v3, v5
	v_add_f16_e32 v3, v17, v3
	v_lshrrev_b32_e32 v20, 16, v7
	v_add_f16_e32 v28, v28, v16
	v_fmac_f16_e32 v17, -0.5, v24
	v_sub_f16_e32 v16, v26, v16
	v_add_f16_e32 v3, v3, v5
	v_add_f16_e32 v5, v18, v19
	v_fmamk_f16 v24, v15, 0xbaee, v6
	v_fmac_f16_e32 v6, 0x3aee, v15
	v_fmamk_f16 v15, v16, 0x3aee, v17
	v_add_f16_e32 v26, v7, v18
	v_fmac_f16_e32 v17, 0xbaee, v16
	v_add_f16_e32 v16, v8, v10
	v_fmac_f16_e32 v7, -0.5, v5
	v_sub_f16_e32 v5, v8, v10
	v_add_f16_e32 v8, v20, v8
	v_lshrrev_b32_e32 v23, 16, v12
	v_fmac_f16_e32 v20, -0.5, v16
	v_sub_f16_e32 v16, v18, v19
	v_fmamk_f16 v18, v5, 0xbaee, v7
	v_fmac_f16_e32 v7, 0x3aee, v5
	v_add_f16_e32 v5, v8, v10
	v_add_f16_e32 v8, v21, v22
	;; [unrolled: 1-line block ×3, first 2 shown]
	v_fmamk_f16 v10, v16, 0x3aee, v20
	v_fmac_f16_e32 v20, 0xbaee, v16
	v_add_f16_e32 v16, v9, v11
	v_add_f16_e32 v19, v12, v21
	v_fmac_f16_e32 v12, -0.5, v8
	v_sub_f16_e32 v8, v9, v11
	v_add_f16_e32 v9, v23, v9
	v_pack_b32_f16 v4, v13, v4
	v_fmac_f16_e32 v23, -0.5, v16
	v_sub_f16_e32 v16, v21, v22
	v_fmamk_f16 v21, v8, 0xbaee, v12
	v_fmac_f16_e32 v12, 0x3aee, v8
	v_add_f16_e32 v8, v9, v11
	v_pack_b32_f16 v11, v27, v25
	v_pack_b32_f16 v2, v2, v14
	;; [unrolled: 1-line block ×3, first 2 shown]
	v_add_f16_e32 v19, v19, v22
	ds_write_b32 v59, v4
	ds_write_b32 v59, v11 offset:1728
	v_pack_b32_f16 v4, v24, v15
	v_fmamk_f16 v9, v16, 0x3aee, v23
	v_pack_b32_f16 v6, v6, v17
	v_fmac_f16_e32 v23, 0xbaee, v16
	v_pack_b32_f16 v5, v26, v5
	ds_write_b32 v59, v2 offset:3456
	ds_write_b32 v77, v3
	ds_write_b32 v77, v4 offset:1728
	ds_write_b32 v77, v6 offset:3456
	ds_write_b32 v79, v5
	v_pack_b32_f16 v2, v18, v10
	v_pack_b32_f16 v3, v7, v20
	;; [unrolled: 1-line block ×5, first 2 shown]
	ds_write_b32 v79, v2 offset:1728
	ds_write_b32 v79, v3 offset:3456
	;; [unrolled: 1-line block ×5, first 2 shown]
	s_waitcnt lgkmcnt(0)
	s_barrier
	buffer_gl0_inv
	ds_read_b32 v2, v59
	ds_read_b32 v3, v59 offset:10368
	ds_read_b32 v4, v59 offset:5184
	;; [unrolled: 1-line block ×11, first 2 shown]
	s_waitcnt lgkmcnt(11)
	v_lshrrev_b32_e32 v14, 16, v2
	s_waitcnt lgkmcnt(10)
	v_lshrrev_b32_e32 v16, 16, v3
	;; [unrolled: 2-line block ×4, first 2 shown]
	v_mul_f16_sdwa v26, v44, v4 dst_sel:DWORD dst_unused:UNUSED_PAD src0_sel:WORD_1 src1_sel:DWORD
	v_mul_f16_sdwa v29, v45, v3 dst_sel:DWORD dst_unused:UNUSED_PAD src0_sel:WORD_1 src1_sel:DWORD
	s_waitcnt lgkmcnt(5)
	v_lshrrev_b32_e32 v19, 16, v8
	v_mul_f16_sdwa v25, v44, v15 dst_sel:DWORD dst_unused:UNUSED_PAD src0_sel:WORD_1 src1_sel:DWORD
	v_mul_f16_sdwa v27, v45, v16 dst_sel:DWORD dst_unused:UNUSED_PAD src0_sel:WORD_1 src1_sel:DWORD
	s_waitcnt lgkmcnt(3)
	v_lshrrev_b32_e32 v21, 16, v10
	s_waitcnt lgkmcnt(2)
	v_lshrrev_b32_e32 v24, 16, v11
	v_lshrrev_b32_e32 v22, 16, v9
	v_fmac_f16_e32 v25, v44, v4
	v_fma_f16 v4, v44, v15, -v26
	v_fmac_f16_e32 v27, v45, v3
	v_mul_f16_sdwa v3, v42, v18 dst_sel:DWORD dst_unused:UNUSED_PAD src0_sel:WORD_1 src1_sel:DWORD
	v_fma_f16 v15, v45, v16, -v29
	v_mul_f16_sdwa v16, v42, v5 dst_sel:DWORD dst_unused:UNUSED_PAD src0_sel:WORD_1 src1_sel:DWORD
	v_mul_f16_sdwa v26, v43, v19 dst_sel:DWORD dst_unused:UNUSED_PAD src0_sel:WORD_1 src1_sel:DWORD
	;; [unrolled: 1-line block ×3, first 2 shown]
	v_fmac_f16_e32 v3, v42, v5
	v_mul_f16_sdwa v5, v40, v21 dst_sel:DWORD dst_unused:UNUSED_PAD src0_sel:WORD_1 src1_sel:DWORD
	v_fma_f16 v16, v42, v18, -v16
	v_fmac_f16_e32 v26, v43, v8
	v_fma_f16 v8, v43, v19, -v29
	v_mul_f16_sdwa v18, v40, v10 dst_sel:DWORD dst_unused:UNUSED_PAD src0_sel:WORD_1 src1_sel:DWORD
	v_mul_f16_sdwa v29, v38, v24 dst_sel:DWORD dst_unused:UNUSED_PAD src0_sel:WORD_1 src1_sel:DWORD
	s_waitcnt lgkmcnt(0)
	v_lshrrev_b32_e32 v28, 16, v13
	v_fmac_f16_e32 v5, v40, v10
	v_mul_f16_sdwa v10, v41, v22 dst_sel:DWORD dst_unused:UNUSED_PAD src0_sel:WORD_1 src1_sel:DWORD
	v_mul_f16_sdwa v19, v41, v9 dst_sel:DWORD dst_unused:UNUSED_PAD src0_sel:WORD_1 src1_sel:DWORD
	v_fma_f16 v18, v40, v21, -v18
	v_mul_f16_sdwa v21, v38, v11 dst_sel:DWORD dst_unused:UNUSED_PAD src0_sel:WORD_1 src1_sel:DWORD
	v_fmac_f16_e32 v29, v38, v11
	v_add_f16_e32 v11, v25, v27
	v_fmac_f16_e32 v10, v41, v9
	v_fma_f16 v9, v41, v22, -v19
	v_fma_f16 v19, v38, v24, -v21
	v_mul_f16_sdwa v21, v39, v28 dst_sel:DWORD dst_unused:UNUSED_PAD src0_sel:WORD_1 src1_sel:DWORD
	v_mul_f16_sdwa v22, v39, v13 dst_sel:DWORD dst_unused:UNUSED_PAD src0_sel:WORD_1 src1_sel:DWORD
	v_add_f16_e32 v24, v2, v25
	v_fmac_f16_e32 v2, -0.5, v11
	v_sub_f16_e32 v11, v4, v15
	v_fmac_f16_e32 v21, v39, v13
	v_fma_f16 v13, v39, v28, -v22
	v_add_f16_e32 v22, v24, v27
	v_add_f16_e32 v24, v4, v15
	v_fmamk_f16 v28, v11, 0xbaee, v2
	v_add_f16_e32 v4, v14, v4
	v_fmac_f16_e32 v2, 0x3aee, v11
	v_add_f16_e32 v11, v3, v26
	v_lshrrev_b32_e32 v17, 16, v6
	v_fmac_f16_e32 v14, -0.5, v24
	v_sub_f16_e32 v24, v25, v27
	v_add_f16_e32 v4, v4, v15
	v_add_f16_e32 v15, v6, v3
	v_fmac_f16_e32 v6, -0.5, v11
	v_sub_f16_e32 v11, v16, v8
	v_fmamk_f16 v25, v24, 0x3aee, v14
	v_fmac_f16_e32 v14, 0xbaee, v24
	v_add_f16_e32 v24, v16, v8
	v_add_f16_e32 v16, v17, v16
	v_fmamk_f16 v27, v11, 0xbaee, v6
	v_fmac_f16_e32 v6, 0x3aee, v11
	v_add_f16_e32 v11, v5, v10
	v_lshrrev_b32_e32 v20, 16, v7
	v_fmac_f16_e32 v17, -0.5, v24
	v_sub_f16_e32 v3, v3, v26
	v_add_f16_e32 v8, v16, v8
	v_add_f16_e32 v16, v7, v5
	v_fmac_f16_e32 v7, -0.5, v11
	v_sub_f16_e32 v11, v18, v9
	v_add_f16_e32 v15, v15, v26
	v_fmamk_f16 v24, v3, 0x3aee, v17
	v_fmac_f16_e32 v17, 0xbaee, v3
	v_add_f16_e32 v3, v16, v10
	v_add_f16_e32 v16, v18, v9
	v_fmamk_f16 v26, v11, 0xbaee, v7
	v_fmac_f16_e32 v7, 0x3aee, v11
	v_add_f16_e32 v11, v29, v21
	v_add_f16_e32 v18, v20, v18
	v_lshrrev_b32_e32 v23, 16, v12
	v_fmac_f16_e32 v20, -0.5, v16
	v_sub_f16_e32 v5, v5, v10
	v_add_f16_e32 v10, v12, v29
	v_fmac_f16_e32 v12, -0.5, v11
	v_sub_f16_e32 v11, v19, v13
	v_add_f16_e32 v9, v18, v9
	v_add_f16_e32 v18, v19, v13
	v_pack_b32_f16 v4, v22, v4
	v_fmamk_f16 v16, v5, 0x3aee, v20
	v_fmac_f16_e32 v20, 0xbaee, v5
	v_add_f16_e32 v5, v10, v21
	v_fmamk_f16 v10, v11, 0xbaee, v12
	v_add_f16_e32 v19, v23, v19
	v_fmac_f16_e32 v12, 0x3aee, v11
	v_pack_b32_f16 v11, v28, v25
	v_fmac_f16_e32 v23, -0.5, v18
	v_sub_f16_e32 v18, v29, v21
	v_pack_b32_f16 v2, v2, v14
	ds_write_b32 v59, v4
	ds_write_b32 v59, v11 offset:5184
	v_pack_b32_f16 v4, v15, v8
	v_add_f16_e32 v13, v19, v13
	v_pack_b32_f16 v8, v27, v24
	v_fmamk_f16 v19, v18, 0x3aee, v23
	v_pack_b32_f16 v6, v6, v17
	v_fmac_f16_e32 v23, 0xbaee, v18
	v_pack_b32_f16 v3, v3, v9
	ds_write_b32 v59, v2 offset:10368
	ds_write_b32 v59, v4 offset:1296
	;; [unrolled: 1-line block ×5, first 2 shown]
	v_pack_b32_f16 v2, v26, v16
	v_pack_b32_f16 v3, v7, v20
	;; [unrolled: 1-line block ×5, first 2 shown]
	ds_write_b32 v59, v2 offset:7776
	ds_write_b32 v59, v3 offset:12960
	;; [unrolled: 1-line block ×5, first 2 shown]
	s_waitcnt lgkmcnt(0)
	s_barrier
	buffer_gl0_inv
	s_and_b32 exec_lo, exec_lo, vcc_lo
	s_cbranch_execz .LBB0_15
; %bb.14:
	s_clause 0x2
	global_load_dword v10, v0, s[14:15]
	global_load_dword v12, v0, s[14:15] offset:972
	global_load_dword v16, v0, s[14:15] offset:1944
	v_add_co_u32 v8, s0, s14, v0
	v_add_co_ci_u32_e64 v9, null, s15, 0, s0
	v_mad_u64_u32 v[4:5], null, s6, v1, 0
	v_add_co_u32 v2, vcc_lo, 0x800, v8
	v_add_co_ci_u32_e32 v3, vcc_lo, 0, v9, vcc_lo
	v_add_co_u32 v6, vcc_lo, 0x1000, v8
	v_add_co_ci_u32_e32 v7, vcc_lo, 0, v9, vcc_lo
	s_clause 0x2
	global_load_dword v20, v[2:3], off offset:868
	global_load_dword v19, v[2:3], off offset:1840
	;; [unrolled: 1-line block ×3, first 2 shown]
	v_mad_u64_u32 v[2:3], null, s4, v58, 0
	v_add_nc_u32_e32 v22, 0x3c0, v0
	v_add_nc_u32_e32 v23, 0x12e0, v0
	ds_read_b32 v21, v0 offset:2916
	ds_read_b32 v13, v0 offset:6804
	;; [unrolled: 1-line block ×3, first 2 shown]
	ds_read_b32 v34, v59
	ds_read_b32 v36, v59 offset:3888
	ds_read_b32 v17, v59 offset:7776
	;; [unrolled: 1-line block ×4, first 2 shown]
	ds_read2_b32 v[24:25], v22 offset0:3 offset1:246
	ds_read2_b32 v[26:27], v23 offset0:7 offset1:250
	v_mad_u64_u32 v[22:23], null, s7, v1, v[5:6]
	v_mov_b32_e32 v1, v3
	v_add_co_u32 v28, vcc_lo, 0x1800, v8
	v_add_co_ci_u32_e32 v29, vcc_lo, 0, v9, vcc_lo
	v_mad_u64_u32 v[32:33], null, s5, v58, v[1:2]
	v_mov_b32_e32 v5, v22
	v_add_co_u32 v30, vcc_lo, 0x2000, v8
	v_add_co_ci_u32_e32 v31, vcc_lo, 0, v9, vcc_lo
	v_lshlrev_b64 v[4:5], 2, v[4:5]
	v_mov_b32_e32 v3, v32
	s_waitcnt lgkmcnt(6)
	v_lshrrev_b32_e32 v23, 16, v34
	s_clause 0x4
	global_load_dword v48, v[6:7], off offset:1736
	global_load_dword v22, v[28:29], off offset:660
	;; [unrolled: 1-line block ×5, first 2 shown]
	s_waitcnt lgkmcnt(1)
	v_lshrrev_b32_e32 v28, 16, v24
	v_lshrrev_b32_e32 v29, 16, v25
	v_lshlrev_b64 v[2:3], 2, v[2:3]
	v_add_co_u32 v4, vcc_lo, s12, v4
	v_add_co_ci_u32_e32 v5, vcc_lo, s13, v5, vcc_lo
	s_mov_b32 s14, 0xa88f4696
	v_add_co_u32 v2, vcc_lo, v4, v2
	v_add_co_ci_u32_e32 v3, vcc_lo, v5, v3, vcc_lo
	s_mov_b32 s15, 0x3f30db20
	v_lshrrev_b32_e32 v37, 16, v21
	s_waitcnt lgkmcnt(0)
	v_lshrrev_b32_e32 v42, 16, v26
	v_lshrrev_b32_e32 v38, 16, v36
	s_mul_i32 s0, s5, 0x3cc
	s_mul_hi_u32 s17, s4, 0x3cc
	s_mul_i32 s16, s4, 0x3cc
	s_add_i32 s17, s17, s0
	s_waitcnt vmcnt(10)
	v_mul_f16_sdwa v4, v23, v10 dst_sel:DWORD dst_unused:UNUSED_PAD src0_sel:DWORD src1_sel:WORD_1
	v_mul_f16_sdwa v5, v34, v10 dst_sel:DWORD dst_unused:UNUSED_PAD src0_sel:DWORD src1_sel:WORD_1
	s_waitcnt vmcnt(9)
	v_mul_f16_sdwa v30, v28, v12 dst_sel:DWORD dst_unused:UNUSED_PAD src0_sel:DWORD src1_sel:WORD_1
	v_mul_f16_sdwa v31, v24, v12 dst_sel:DWORD dst_unused:UNUSED_PAD src0_sel:DWORD src1_sel:WORD_1
	s_waitcnt vmcnt(8)
	v_mul_f16_sdwa v32, v29, v16 dst_sel:DWORD dst_unused:UNUSED_PAD src0_sel:DWORD src1_sel:WORD_1
	v_fmac_f16_e32 v4, v34, v10
	v_mul_f16_sdwa v33, v25, v16 dst_sel:DWORD dst_unused:UNUSED_PAD src0_sel:DWORD src1_sel:WORD_1
	v_fma_f16 v5, v10, v23, -v5
	v_fmac_f16_e32 v30, v24, v12
	v_fma_f16 v10, v12, v28, -v31
	v_cvt_f32_f16_e32 v4, v4
	v_fmac_f16_e32 v32, v25, v16
	v_fma_f16 v12, v16, v29, -v33
	v_cvt_f32_f16_e32 v16, v5
	v_cvt_f32_f16_e32 v25, v30
	v_cvt_f64_f32_e32 v[4:5], v4
	v_cvt_f32_f16_e32 v10, v10
	v_cvt_f32_f16_e32 v32, v32
	v_cvt_f64_f32_e32 v[23:24], v16
	v_cvt_f64_f32_e32 v[28:29], v25
	v_cvt_f32_f16_e32 v12, v12
	v_cvt_f64_f32_e32 v[30:31], v10
	v_cvt_f64_f32_e32 v[32:33], v32
	s_waitcnt vmcnt(7)
	v_mul_f16_sdwa v40, v21, v20 dst_sel:DWORD dst_unused:UNUSED_PAD src0_sel:DWORD src1_sel:WORD_1
	v_mul_f16_sdwa v39, v37, v20 dst_sel:DWORD dst_unused:UNUSED_PAD src0_sel:DWORD src1_sel:WORD_1
	v_cvt_f64_f32_e32 v[34:35], v12
	s_waitcnt vmcnt(5)
	v_mul_f16_sdwa v44, v42, v18 dst_sel:DWORD dst_unused:UNUSED_PAD src0_sel:DWORD src1_sel:WORD_1
	v_mul_f16_sdwa v45, v26, v18 dst_sel:DWORD dst_unused:UNUSED_PAD src0_sel:DWORD src1_sel:WORD_1
	v_fma_f16 v10, v20, v37, -v40
	v_mul_f16_sdwa v43, v36, v19 dst_sel:DWORD dst_unused:UNUSED_PAD src0_sel:DWORD src1_sel:WORD_1
	v_fmac_f16_e32 v39, v21, v20
	v_fmac_f16_e32 v44, v26, v18
	v_mul_f16_sdwa v41, v38, v19 dst_sel:DWORD dst_unused:UNUSED_PAD src0_sel:DWORD src1_sel:WORD_1
	v_cvt_f32_f16_e32 v10, v10
	v_fma_f16 v12, v19, v38, -v43
	v_cvt_f32_f16_e32 v16, v39
	v_cvt_f32_f16_e32 v40, v44
	v_mul_f64 v[4:5], v[4:5], s[14:15]
	v_cvt_f64_f32_e32 v[25:26], v10
	v_fma_f16 v10, v18, v42, -v45
	v_mul_f64 v[23:24], v[23:24], s[14:15]
	v_mul_f64 v[28:29], v[28:29], s[14:15]
	v_add_co_u32 v42, vcc_lo, v2, s16
	v_mul_f64 v[30:31], v[30:31], s[14:15]
	v_mul_f64 v[32:33], v[32:33], s[14:15]
	v_add_co_ci_u32_e32 v43, vcc_lo, s17, v3, vcc_lo
	v_add_co_u32 v44, vcc_lo, v42, s16
	v_fmac_f16_e32 v41, v36, v19
	v_mul_f64 v[34:35], v[34:35], s[14:15]
	v_add_co_ci_u32_e32 v45, vcc_lo, s17, v43, vcc_lo
	v_cvt_f64_f32_e32 v[19:20], v16
	v_cvt_f32_f16_e32 v21, v41
	v_cvt_f32_f16_e32 v12, v12
	v_cvt_f64_f32_e32 v[40:41], v40
	v_cvt_f32_f16_e32 v10, v10
	v_and_or_b32 v4, 0x1ff, v5, v4
	v_cvt_f64_f32_e32 v[36:37], v21
	v_cvt_f64_f32_e32 v[38:39], v12
	v_and_or_b32 v16, 0x1ff, v24, v23
	v_and_or_b32 v28, 0x1ff, v29, v28
	v_cmp_ne_u32_e32 vcc_lo, 0, v4
	v_cvt_f64_f32_e32 v[46:47], v10
	v_and_or_b32 v30, 0x1ff, v31, v30
	v_and_or_b32 v32, 0x1ff, v33, v32
	v_lshrrev_b32_e32 v10, 8, v5
	v_cndmask_b32_e64 v4, 0, 1, vcc_lo
	v_cmp_ne_u32_e32 vcc_lo, 0, v16
	v_bfe_u32 v12, v5, 20, 11
	v_lshrrev_b32_e32 v23, 8, v24
	v_and_or_b32 v34, 0x1ff, v35, v34
	v_and_or_b32 v4, 0xffe, v10, v4
	v_cndmask_b32_e64 v16, 0, 1, vcc_lo
	v_cmp_ne_u32_e32 vcc_lo, 0, v28
	v_mul_f64 v[18:19], v[19:20], s[14:15]
	v_mul_f64 v[20:21], v[25:26], s[14:15]
	v_sub_nc_u32_e32 v56, 0x3f1, v12
	v_add_nc_u32_e32 v12, 0xfffffc10, v12
	v_cndmask_b32_e64 v28, 0, 1, vcc_lo
	v_cmp_ne_u32_e32 vcc_lo, 0, v30
	v_mul_f64 v[25:26], v[36:37], s[14:15]
	v_mul_f64 v[36:37], v[38:39], s[14:15]
	;; [unrolled: 1-line block ×3, first 2 shown]
	v_bfe_u32 v40, v24, 20, 11
	v_cndmask_b32_e64 v30, 0, 1, vcc_lo
	v_cmp_ne_u32_e32 vcc_lo, 0, v32
	v_lshrrev_b32_e32 v41, 8, v29
	v_and_or_b32 v16, 0xffe, v23, v16
	v_bfe_u32 v49, v29, 20, 11
	v_lshrrev_b32_e32 v50, 8, v31
	v_cndmask_b32_e64 v32, 0, 1, vcc_lo
	v_cmp_ne_u32_e32 vcc_lo, 0, v34
	v_sub_nc_u32_e32 v57, 0x3f1, v40
	v_add_nc_u32_e32 v40, 0xfffffc10, v40
	v_and_or_b32 v28, 0xffe, v41, v28
	v_or_b32_e32 v64, 0x1000, v4
	v_cndmask_b32_e64 v34, 0, 1, vcc_lo
	v_cmp_ne_u32_e32 vcc_lo, 0, v4
	v_lshl_or_b32 v65, v12, 12, v4
	v_bfe_u32 v51, v31, 20, 11
	v_lshrrev_b32_e32 v52, 8, v33
	v_sub_nc_u32_e32 v58, 0x3f1, v49
	v_cndmask_b32_e64 v4, 0, 1, vcc_lo
	v_cmp_ne_u32_e32 vcc_lo, 0, v16
	v_add_nc_u32_e32 v49, 0xfffffc10, v49
	v_and_or_b32 v30, 0xffe, v50, v30
	v_or_b32_e32 v66, 0x1000, v16
	v_lshl_or_b32 v67, v40, 12, v16
	v_cndmask_b32_e64 v16, 0, 1, vcc_lo
	v_cmp_ne_u32_e32 vcc_lo, 0, v28
	v_bfe_u32 v53, v33, 20, 11
	v_lshrrev_b32_e32 v54, 8, v35
	v_sub_nc_u32_e32 v59, 0x3f1, v51
	v_add_nc_u32_e32 v51, 0xfffffc10, v51
	v_and_or_b32 v32, 0xffe, v52, v32
	v_or_b32_e32 v68, 0x1000, v28
	v_lshl_or_b32 v69, v49, 12, v28
	v_cndmask_b32_e64 v28, 0, 1, vcc_lo
	v_cmp_ne_u32_e32 vcc_lo, 0, v30
	v_bfe_u32 v55, v35, 20, 11
	v_sub_nc_u32_e32 v60, 0x3f1, v53
	v_add_nc_u32_e32 v53, 0xfffffc10, v53
	v_and_or_b32 v34, 0xffe, v54, v34
	v_or_b32_e32 v70, 0x1000, v30
	v_lshl_or_b32 v71, v51, 12, v30
	v_cndmask_b32_e64 v30, 0, 1, vcc_lo
	v_cmp_ne_u32_e32 vcc_lo, 0, v32
	v_sub_nc_u32_e32 v61, 0x3f1, v55
	v_add_nc_u32_e32 v55, 0xfffffc10, v55
	v_and_or_b32 v18, 0x1ff, v19, v18
	v_or_b32_e32 v72, 0x1000, v32
	v_lshl_or_b32 v73, v53, 12, v32
	v_cndmask_b32_e64 v32, 0, 1, vcc_lo
	v_cmp_ne_u32_e32 vcc_lo, 0, v34
	v_and_or_b32 v20, 0x1ff, v21, v20
	v_or_b32_e32 v74, 0x1000, v34
	v_lshl_or_b32 v75, v55, 12, v34
	v_and_or_b32 v25, 0x1ff, v26, v25
	v_cndmask_b32_e64 v34, 0, 1, vcc_lo
	v_cmp_ne_u32_e32 vcc_lo, 0, v18
	v_med3_i32 v10, v56, 0, 13
	v_lshrrev_b32_e32 v56, 8, v19
	v_and_or_b32 v36, 0x1ff, v37, v36
	v_med3_i32 v23, v57, 0, 13
	v_cndmask_b32_e64 v18, 0, 1, vcc_lo
	v_cmp_ne_u32_e32 vcc_lo, 0, v20
	v_med3_i32 v41, v58, 0, 13
	v_med3_i32 v50, v59, 0, 13
	v_bfe_u32 v57, v19, 20, 11
	v_lshrrev_b32_e32 v58, 8, v21
	v_cndmask_b32_e64 v20, 0, 1, vcc_lo
	v_cmp_ne_u32_e32 vcc_lo, 0, v25
	v_bfe_u32 v59, v21, 20, 11
	v_and_or_b32 v18, 0xffe, v56, v18
	v_med3_i32 v54, v61, 0, 13
	v_bfe_u32 v61, v26, 20, 11
	v_cndmask_b32_e64 v25, 0, 1, vcc_lo
	v_cmp_ne_u32_e32 vcc_lo, 0, v36
	v_bfe_u32 v63, v37, 20, 11
	v_sub_nc_u32_e32 v76, 0x3f1, v57
	v_add_nc_u32_e32 v57, 0xfffffc10, v57
	v_sub_nc_u32_e32 v77, 0x3f1, v59
	v_cndmask_b32_e64 v36, 0, 1, vcc_lo
	v_lshrrev_b32_e32 v80, v10, v64
	v_and_or_b32 v20, 0xffe, v58, v20
	v_cmp_ne_u32_e32 vcc_lo, 0, v18
	v_med3_i32 v52, v60, 0, 13
	v_lshrrev_b32_e32 v60, 8, v26
	v_lshrrev_b32_e32 v62, 8, v37
	v_add_nc_u32_e32 v59, 0xfffffc10, v59
	v_sub_nc_u32_e32 v78, 0x3f1, v61
	v_sub_nc_u32_e32 v79, 0x3f1, v63
	v_lshrrev_b32_e32 v81, v23, v66
	v_med3_i32 v56, v76, 0, 13
	v_med3_i32 v58, v77, 0, 13
	v_lshlrev_b32_e32 v10, v10, v80
	v_or_b32_e32 v76, 0x1000, v18
	v_lshl_or_b32 v77, v57, 12, v18
	v_cndmask_b32_e64 v18, 0, 1, vcc_lo
	v_cmp_ne_u32_e32 vcc_lo, 0, v20
	v_lshrrev_b32_e32 v82, v41, v68
	v_and_or_b32 v25, 0xffe, v60, v25
	v_med3_i32 v60, v78, 0, 13
	v_and_or_b32 v36, 0xffe, v62, v36
	v_med3_i32 v62, v79, 0, 13
	v_lshlrev_b32_e32 v23, v23, v81
	v_or_b32_e32 v78, 0x1000, v20
	v_lshl_or_b32 v79, v59, 12, v20
	v_cndmask_b32_e64 v20, 0, 1, vcc_lo
	v_cmp_ne_u32_e32 vcc_lo, v10, v64
	v_lshrrev_b32_e32 v83, v50, v70
	v_lshlrev_b32_e32 v41, v41, v82
	v_lshrrev_b32_e32 v84, v52, v72
	v_lshrrev_b32_e32 v85, v54, v74
	v_cndmask_b32_e64 v10, 0, 1, vcc_lo
	v_cmp_ne_u32_e32 vcc_lo, v23, v66
	v_lshlrev_b32_e32 v50, v50, v83
	v_lshlrev_b32_e32 v52, v52, v84
	;; [unrolled: 1-line block ×3, first 2 shown]
	v_or_b32_e32 v10, v80, v10
	v_cndmask_b32_e64 v23, 0, 1, vcc_lo
	v_cmp_ne_u32_e32 vcc_lo, v41, v68
	v_lshrrev_b32_e32 v64, v56, v76
	v_or_b32_e32 v86, 0x1000, v25
	v_lshrrev_b32_e32 v66, v58, v78
	v_or_b32_e32 v23, v81, v23
	v_cndmask_b32_e64 v41, 0, 1, vcc_lo
	v_cmp_ne_u32_e32 vcc_lo, v50, v70
	v_lshlrev_b32_e32 v56, v56, v64
	v_or_b32_e32 v88, 0x1000, v36
	v_lshrrev_b32_e32 v68, v60, v86
	v_or_b32_e32 v41, v82, v41
	v_cndmask_b32_e64 v50, 0, 1, vcc_lo
	v_cmp_ne_u32_e32 vcc_lo, v52, v72
	v_lshlrev_b32_e32 v58, v58, v66
	v_lshrrev_b32_e32 v70, v62, v88
	v_lshlrev_b32_e32 v60, v60, v68
	v_or_b32_e32 v50, v83, v50
	v_cndmask_b32_e64 v52, 0, 1, vcc_lo
	v_cmp_ne_u32_e32 vcc_lo, v54, v74
	v_lshlrev_b32_e32 v62, v62, v70
	v_cmp_gt_i32_e64 s11, 1, v57
	v_lshl_or_b32 v4, v4, 9, 0x7c00
	v_or_b32_e32 v52, v84, v52
	v_cndmask_b32_e64 v54, 0, 1, vcc_lo
	v_cmp_gt_i32_e32 vcc_lo, 1, v12
	v_lshl_or_b32 v16, v16, 9, 0x7c00
	v_lshl_or_b32 v28, v28, 9, 0x7c00
	;; [unrolled: 1-line block ×3, first 2 shown]
	v_or_b32_e32 v54, v85, v54
	v_cndmask_b32_e32 v10, v65, v10, vcc_lo
	v_cmp_gt_i32_e32 vcc_lo, 1, v40
	v_lshl_or_b32 v32, v32, 9, 0x7c00
	v_add_nc_u32_e32 v61, 0xfffffc10, v61
	v_lshrrev_b32_e32 v5, 16, v5
	v_and_b32_e32 v65, 7, v10
	v_cndmask_b32_e32 v23, v67, v23, vcc_lo
	v_cmp_gt_i32_e32 vcc_lo, 1, v49
	v_lshrrev_b32_e32 v10, 2, v10
	v_lshrrev_b32_e32 v24, 16, v24
	v_cmp_eq_u32_e64 s0, 3, v65
	v_and_b32_e32 v67, 7, v23
	v_cndmask_b32_e32 v41, v69, v41, vcc_lo
	v_cmp_gt_i32_e32 vcc_lo, 1, v51
	v_lshrrev_b32_e32 v23, 2, v23
	v_lshl_or_b32 v34, v34, 9, 0x7c00
	v_cmp_lt_i32_e64 s1, 5, v67
	v_and_b32_e32 v69, 7, v41
	v_cndmask_b32_e32 v50, v71, v50, vcc_lo
	v_cmp_gt_i32_e32 vcc_lo, 1, v53
	v_cmp_eq_u32_e64 s2, 3, v67
	v_lshrrev_b32_e32 v41, 2, v41
	v_cmp_lt_i32_e64 s3, 5, v69
	v_and_b32_e32 v71, 7, v50
	v_cndmask_b32_e32 v52, v73, v52, vcc_lo
	v_cmp_gt_i32_e32 vcc_lo, 1, v55
	v_cmp_eq_u32_e64 s4, 3, v69
	v_lshrrev_b32_e32 v50, 2, v50
	v_cmp_lt_i32_e64 s5, 5, v71
	v_and_b32_e32 v72, 7, v52
	v_cndmask_b32_e32 v54, v75, v54, vcc_lo
	v_cmp_ne_u32_e32 vcc_lo, v56, v76
	v_cmp_eq_u32_e64 s6, 3, v71
	v_lshrrev_b32_e32 v52, 2, v52
	v_cmp_lt_i32_e64 s7, 5, v72
	v_and_b32_e32 v73, 7, v54
	v_cndmask_b32_e64 v56, 0, 1, vcc_lo
	v_cmp_ne_u32_e32 vcc_lo, v58, v78
	v_cmp_eq_u32_e64 s8, 3, v72
	v_lshrrev_b32_e32 v54, 2, v54
	v_cmp_lt_i32_e64 s9, 5, v73
	v_cmp_eq_u32_e64 s10, 3, v73
	v_cndmask_b32_e64 v58, 0, 1, vcc_lo
	v_cmp_ne_u32_e32 vcc_lo, v60, v86
	v_or_b32_e32 v56, v64, v56
	v_lshl_or_b32 v87, v61, 12, v25
	v_lshrrev_b32_e32 v29, 16, v29
	v_or_b32_e32 v58, v66, v58
	v_cndmask_b32_e64 v60, 0, 1, vcc_lo
	v_cmp_ne_u32_e32 vcc_lo, v62, v88
	v_cndmask_b32_e64 v56, v77, v56, s11
	v_cmp_gt_i32_e64 s11, 1, v59
	v_lshrrev_b32_e32 v31, 16, v31
	v_or_b32_e32 v60, v68, v60
	v_cndmask_b32_e64 v62, 0, 1, vcc_lo
	v_cmp_lt_i32_e32 vcc_lo, 5, v65
	v_cndmask_b32_e64 v58, v79, v58, s11
	v_and_b32_e32 v64, 7, v56
	v_lshrrev_b32_e32 v56, 2, v56
	v_cmp_gt_i32_e64 s11, 1, v61
	s_or_b32 vcc_lo, s0, vcc_lo
	v_and_b32_e32 v65, 7, v58
	v_add_co_ci_u32_e32 v10, vcc_lo, 0, v10, vcc_lo
	s_or_b32 vcc_lo, s2, s1
	v_cmp_eq_u32_e64 s0, 3, v64
	v_add_co_ci_u32_e32 v23, vcc_lo, 0, v23, vcc_lo
	s_or_b32 vcc_lo, s4, s3
	v_cmp_lt_i32_e64 s1, 5, v65
	v_add_co_ci_u32_e32 v41, vcc_lo, 0, v41, vcc_lo
	s_or_b32 vcc_lo, s6, s5
	v_cmp_eq_u32_e64 s5, 0x40f, v12
	v_add_co_ci_u32_e32 v50, vcc_lo, 0, v50, vcc_lo
	s_or_b32 vcc_lo, s8, s7
	v_cmp_eq_u32_e64 s2, 3, v65
	v_add_co_ci_u32_e32 v52, vcc_lo, 0, v52, vcc_lo
	s_or_b32 vcc_lo, s10, s9
	v_lshrrev_b32_e32 v58, 2, v58
	v_add_co_ci_u32_e32 v54, vcc_lo, 0, v54, vcc_lo
	v_cmp_gt_i32_e32 vcc_lo, 31, v12
	v_lshrrev_b32_e32 v33, 16, v33
	v_lshrrev_b32_e32 v35, 16, v35
	v_cndmask_b32_e64 v60, v87, v60, s11
	v_lshl_or_b32 v18, v18, 9, 0x7c00
	v_cndmask_b32_e32 v10, 0x7c00, v10, vcc_lo
	v_cmp_gt_i32_e32 vcc_lo, 31, v40
	v_lshl_or_b32 v20, v20, 9, 0x7c00
	v_and_b32_e32 v66, 7, v60
	v_lshrrev_b32_e32 v60, 2, v60
	v_cndmask_b32_e64 v4, v10, v4, s5
	v_cndmask_b32_e32 v23, 0x7c00, v23, vcc_lo
	v_cmp_gt_i32_e32 vcc_lo, 31, v49
	v_cmp_eq_u32_e64 s5, 0x40f, v40
	v_cmp_lt_i32_e64 s3, 5, v66
	v_and_or_b32 v4, 0x8000, v5, v4
	v_cmp_eq_u32_e64 s4, 3, v66
	v_cndmask_b32_e32 v41, 0x7c00, v41, vcc_lo
	v_cmp_gt_i32_e32 vcc_lo, 31, v51
	v_cndmask_b32_e64 v10, v23, v16, s5
	v_cmp_eq_u32_e64 s5, 0x40f, v49
	v_and_b32_e32 v4, 0xffff, v4
	v_add_nc_u32_e32 v63, 0xfffffc10, v63
	v_cndmask_b32_e32 v50, 0x7c00, v50, vcc_lo
	v_cmp_gt_i32_e32 vcc_lo, 31, v53
	v_cndmask_b32_e64 v12, v41, v28, s5
	v_cmp_eq_u32_e64 s5, 0x40f, v51
	v_and_or_b32 v5, 0x8000, v24, v10
	v_lshl_or_b32 v89, v63, 12, v36
	v_cndmask_b32_e32 v52, 0x7c00, v52, vcc_lo
	v_cmp_gt_i32_e32 vcc_lo, 31, v55
	v_cndmask_b32_e64 v16, v50, v30, s5
	v_cmp_eq_u32_e64 s5, 0x40f, v53
	v_and_or_b32 v10, 0x8000, v29, v12
	v_lshl_or_b32 v4, v5, 16, v4
	v_cndmask_b32_e32 v54, 0x7c00, v54, vcc_lo
	v_cmp_lt_i32_e32 vcc_lo, 5, v64
	v_cndmask_b32_e64 v23, v52, v32, s5
	v_cmp_eq_u32_e64 s5, 0x40f, v55
	v_and_or_b32 v12, 0x8000, v31, v16
	v_and_b32_e32 v10, 0xffff, v10
	s_or_b32 vcc_lo, s0, vcc_lo
	v_and_or_b32 v16, 0x8000, v33, v23
	v_add_co_ci_u32_e32 v30, vcc_lo, 0, v56, vcc_lo
	s_or_b32 vcc_lo, s2, s1
	v_cndmask_b32_e64 v28, v54, v34, s5
	v_add_co_ci_u32_e32 v32, vcc_lo, 0, v58, vcc_lo
	v_cmp_gt_i32_e32 vcc_lo, 31, v57
	v_and_b32_e32 v16, 0xffff, v16
	v_and_or_b32 v23, 0x8000, v35, v28
	v_lshl_or_b32 v5, v12, 16, v10
	v_or_b32_e32 v62, v70, v62
	v_cndmask_b32_e32 v24, 0x7c00, v30, vcc_lo
	v_cmp_gt_i32_e32 vcc_lo, 31, v59
	v_lshl_or_b32 v10, v23, 16, v16
	global_store_dword v[2:3], v4, off
	global_store_dword v[42:43], v5, off
	;; [unrolled: 1-line block ×3, first 2 shown]
	v_cndmask_b32_e32 v28, 0x7c00, v32, vcc_lo
	v_cmp_eq_u32_e32 vcc_lo, 0x40f, v57
	v_lshrrev_b32_e32 v19, 16, v19
	v_and_or_b32 v3, 0x1ff, v39, v38
	v_lshrrev_b32_e32 v21, 16, v21
	v_cmp_eq_u32_e64 s1, 0x40f, v61
	v_cndmask_b32_e32 v18, v24, v18, vcc_lo
	v_cmp_eq_u32_e32 vcc_lo, 0x40f, v59
	v_lshrrev_b32_e32 v23, 16, v26
	v_and_or_b32 v12, 0x8000, v19, v18
	v_cndmask_b32_e32 v20, v28, v20, vcc_lo
	s_or_b32 vcc_lo, s4, s3
	v_lshrrev_b32_e32 v18, 8, v39
	v_add_co_ci_u32_e32 v2, vcc_lo, 0, v60, vcc_lo
	v_cmp_gt_i32_e32 vcc_lo, 1, v63
	v_and_b32_e32 v4, 0xffff, v12
	v_bfe_u32 v19, v39, 20, 11
	v_and_or_b32 v16, 0x8000, v21, v20
	v_cndmask_b32_e32 v5, v89, v62, vcc_lo
	v_cmp_gt_i32_e32 vcc_lo, 31, v61
	v_lshl_or_b32 v16, v16, 16, v4
	v_and_b32_e32 v12, 7, v5
	v_cndmask_b32_e32 v10, 0x7c00, v2, vcc_lo
	v_cmp_ne_u32_e32 vcc_lo, 0, v25
	v_lshrrev_b32_e32 v5, 2, v5
	v_add_nc_u32_e32 v25, 0xfffffc10, v19
	v_cmp_eq_u32_e64 s0, 3, v12
	v_cndmask_b32_e64 v2, 0, 1, vcc_lo
	v_cmp_ne_u32_e32 vcc_lo, 0, v3
	v_lshl_or_b32 v20, v2, 9, 0x7c00
	v_cndmask_b32_e64 v3, 0, 1, vcc_lo
	v_cmp_lt_i32_e32 vcc_lo, 5, v12
	v_cndmask_b32_e64 v10, v10, v20, s1
	v_and_or_b32 v12, 0xffe, v18, v3
	v_mul_f64 v[2:3], v[46:47], s[14:15]
	v_sub_nc_u32_e32 v18, 0x3f1, v19
	s_or_b32 vcc_lo, s0, vcc_lo
	v_and_or_b32 v10, 0x8000, v23, v10
	v_add_co_ci_u32_e32 v5, vcc_lo, 0, v5, vcc_lo
	v_or_b32_e32 v20, 0x1000, v12
	v_med3_i32 v18, v18, 0, 13
	v_cmp_ne_u32_e32 vcc_lo, 0, v36
	v_lshrrev_b32_e32 v23, 16, v27
	v_and_b32_e32 v10, 0xffff, v10
	v_lshrrev_b32_e32 v24, v18, v20
	v_cndmask_b32_e64 v21, 0, 1, vcc_lo
	v_cmp_gt_i32_e32 vcc_lo, 31, v63
	v_lshlrev_b32_e32 v4, v18, v24
	v_lshl_or_b32 v21, v21, 9, 0x7c00
	v_cndmask_b32_e32 v5, 0x7c00, v5, vcc_lo
	v_cmp_eq_u32_e32 vcc_lo, 0x40f, v63
	v_and_or_b32 v2, 0x1ff, v3, v2
	v_lshrrev_b32_e32 v19, 8, v3
	v_cndmask_b32_e32 v18, v5, v21, vcc_lo
	v_cmp_ne_u32_e32 vcc_lo, v4, v20
	s_waitcnt vmcnt(4)
	v_mul_f16_sdwa v5, v23, v48 dst_sel:DWORD dst_unused:UNUSED_PAD src0_sel:DWORD src1_sel:WORD_1
	v_bfe_u32 v20, v3, 20, 11
	v_lshrrev_b32_e32 v21, 16, v37
	v_cndmask_b32_e64 v4, 0, 1, vcc_lo
	v_cmp_ne_u32_e32 vcc_lo, 0, v2
	v_fmac_f16_e32 v5, v27, v48
	v_and_or_b32 v21, 0x8000, v21, v18
	v_mul_f16_sdwa v27, v27, v48 dst_sel:DWORD dst_unused:UNUSED_PAD src0_sel:DWORD src1_sel:WORD_1
	v_or_b32_e32 v4, v24, v4
	v_cndmask_b32_e64 v2, 0, 1, vcc_lo
	v_lshl_or_b32 v24, v25, 12, v12
	v_cvt_f32_f16_e32 v5, v5
	v_cmp_gt_i32_e32 vcc_lo, 1, v25
	v_lshl_or_b32 v10, v21, 16, v10
	v_and_or_b32 v2, 0xffe, v19, v2
	v_sub_nc_u32_e32 v19, 0x3f1, v20
	v_cndmask_b32_e32 v24, v24, v4, vcc_lo
	v_cvt_f64_f32_e32 v[4:5], v5
	v_or_b32_e32 v26, 0x1000, v2
	v_med3_i32 v28, v19, 0, 13
	v_add_co_u32 v18, vcc_lo, v44, s16
	v_and_b32_e32 v29, 7, v24
	v_add_co_ci_u32_e32 v19, vcc_lo, s17, v45, vcc_lo
	v_lshrrev_b32_e32 v30, v28, v26
	v_lshrrev_b32_e32 v24, 2, v24
	v_cmp_lt_i32_e32 vcc_lo, 5, v29
	v_cmp_eq_u32_e64 s0, 3, v29
	v_lshlrev_b32_e32 v21, v28, v30
	s_or_b32 vcc_lo, s0, vcc_lo
	v_cmp_ne_u32_e64 s1, v21, v26
	v_add_nc_u32_e32 v26, 0xfffffc10, v20
	v_fma_f16 v20, v48, v23, -v27
	v_add_co_ci_u32_e32 v23, vcc_lo, 0, v24, vcc_lo
	v_cndmask_b32_e64 v21, 0, 1, s1
	v_cmp_ne_u32_e32 vcc_lo, 0, v12
	v_mul_f64 v[4:5], v[4:5], s[14:15]
	v_lshl_or_b32 v24, v26, 12, v2
	v_cvt_f32_f16_e32 v20, v20
	v_or_b32_e32 v21, v30, v21
	v_cndmask_b32_e64 v12, 0, 1, vcc_lo
	v_cmp_gt_i32_e32 vcc_lo, 1, v26
	v_cmp_eq_u32_e64 s1, 0x40f, v25
	v_lshrrev_b32_e32 v30, 16, v13
	v_lshl_or_b32 v12, v12, 9, 0x7c00
	v_cndmask_b32_e32 v27, v24, v21, vcc_lo
	v_cmp_gt_i32_e32 vcc_lo, 31, v25
	v_cvt_f64_f32_e32 v[20:21], v20
	s_waitcnt vmcnt(3)
	v_mul_f16_sdwa v31, v30, v22 dst_sel:DWORD dst_unused:UNUSED_PAD src0_sel:DWORD src1_sel:WORD_1
	v_and_b32_e32 v29, 7, v27
	v_cndmask_b32_e32 v28, 0x7c00, v23, vcc_lo
	v_add_co_u32 v23, vcc_lo, v18, s16
	v_add_co_ci_u32_e32 v24, vcc_lo, s17, v19, vcc_lo
	v_cmp_lt_i32_e32 vcc_lo, 5, v29
	v_cmp_eq_u32_e64 s0, 3, v29
	v_lshrrev_b32_e32 v25, 2, v27
	v_and_or_b32 v4, 0x1ff, v5, v4
	v_cndmask_b32_e64 v12, v28, v12, s1
	v_lshrrev_b32_e32 v28, 8, v5
	s_or_b32 vcc_lo, s0, vcc_lo
	v_bfe_u32 v29, v5, 20, 11
	v_add_co_ci_u32_e32 v25, vcc_lo, 0, v25, vcc_lo
	v_cmp_ne_u32_e32 vcc_lo, 0, v4
	v_lshrrev_b32_e32 v27, 16, v39
	v_fmac_f16_e32 v31, v13, v22
	v_mul_f64 v[20:21], v[20:21], s[14:15]
	v_mul_f16_sdwa v13, v13, v22 dst_sel:DWORD dst_unused:UNUSED_PAD src0_sel:DWORD src1_sel:WORD_1
	v_cndmask_b32_e64 v4, 0, 1, vcc_lo
	v_cmp_ne_u32_e32 vcc_lo, 0, v2
	v_and_or_b32 v12, 0x8000, v27, v12
	v_fma_f16 v13, v22, v30, -v13
	v_and_or_b32 v4, 0xffe, v28, v4
	v_sub_nc_u32_e32 v28, 0x3f1, v29
	v_cndmask_b32_e64 v2, 0, 1, vcc_lo
	v_cmp_gt_i32_e32 vcc_lo, 31, v26
	v_add_nc_u32_e32 v29, 0xfffffc10, v29
	v_or_b32_e32 v32, 0x1000, v4
	v_med3_i32 v28, v28, 0, 13
	v_lshl_or_b32 v2, v2, 9, 0x7c00
	v_cndmask_b32_e32 v25, 0x7c00, v25, vcc_lo
	v_cmp_eq_u32_e32 vcc_lo, 0x40f, v26
	v_and_b32_e32 v12, 0xffff, v12
	v_lshrrev_b32_e32 v33, v28, v32
	v_lshrrev_b32_e32 v30, 16, v17
	v_cndmask_b32_e32 v27, v25, v2, vcc_lo
	v_add_co_u32 v25, vcc_lo, 0x2800, v8
	v_lshlrev_b32_e32 v28, v28, v33
	v_add_co_ci_u32_e32 v26, vcc_lo, 0, v9, vcc_lo
	v_and_or_b32 v20, 0x1ff, v21, v20
	v_cvt_f32_f16_e32 v2, v31
	v_cmp_ne_u32_e32 vcc_lo, v28, v32
	v_lshrrev_b32_e32 v31, 16, v3
	v_lshrrev_b32_e32 v32, 8, v21
	v_bfe_u32 v35, v21, 20, 11
	v_cvt_f64_f32_e32 v[2:3], v2
	v_cndmask_b32_e64 v28, 0, 1, vcc_lo
	v_cmp_ne_u32_e32 vcc_lo, 0, v20
	v_and_or_b32 v27, 0x8000, v31, v27
	v_lshl_or_b32 v31, v29, 12, v4
	global_load_dword v34, v[25:26], off offset:452
	v_or_b32_e32 v28, v33, v28
	v_cndmask_b32_e64 v20, 0, 1, vcc_lo
	v_cmp_gt_i32_e32 vcc_lo, 1, v29
	global_store_dword v[18:19], v16, off
	global_store_dword v[23:24], v10, off
	v_lshl_or_b32 v10, v27, 16, v12
	v_add_nc_u32_e32 v22, 0xfffffc10, v35
	v_and_or_b32 v20, 0xffe, v32, v20
	v_sub_nc_u32_e32 v32, 0x3f1, v35
	v_cndmask_b32_e32 v28, v31, v28, vcc_lo
	v_add_co_u32 v18, vcc_lo, v23, s16
	v_or_b32_e32 v31, 0x1000, v20
	v_med3_i32 v32, v32, 0, 13
	v_and_b32_e32 v12, 7, v28
	v_add_co_ci_u32_e32 v19, vcc_lo, s17, v24, vcc_lo
	v_mul_f64 v[2:3], v[2:3], s[14:15]
	v_lshrrev_b32_e32 v16, v32, v31
	v_cmp_lt_i32_e32 vcc_lo, 5, v12
	v_cmp_eq_u32_e64 s0, 3, v12
	v_lshrrev_b32_e32 v12, 2, v28
	global_store_dword v[18:19], v10, off
	v_lshlrev_b32_e32 v23, v32, v16
	s_or_b32 vcc_lo, s0, vcc_lo
	v_add_co_ci_u32_e32 v24, vcc_lo, 0, v12, vcc_lo
	v_cmp_ne_u32_e64 s1, v23, v31
	v_cmp_ne_u32_e32 vcc_lo, 0, v4
	v_cvt_f32_f16_e32 v12, v13
	v_cndmask_b32_e64 v23, 0, 1, s1
	v_cndmask_b32_e64 v4, 0, 1, vcc_lo
	v_cmp_gt_i32_e32 vcc_lo, 1, v22
	v_cvt_f64_f32_e32 v[12:13], v12
	v_or_b32_e32 v16, v16, v23
	v_lshl_or_b32 v23, v22, 12, v20
	v_and_or_b32 v2, 0x1ff, v3, v2
	v_lshl_or_b32 v4, v4, 9, 0x7c00
	v_bfe_u32 v28, v3, 20, 11
	v_lshrrev_b32_e32 v27, 8, v3
	v_cndmask_b32_e32 v16, v23, v16, vcc_lo
	v_cmp_gt_i32_e32 vcc_lo, 31, v29
	v_cndmask_b32_e32 v23, 0x7c00, v24, vcc_lo
	v_cmp_ne_u32_e32 vcc_lo, 0, v2
	v_and_b32_e32 v24, 7, v16
	v_lshrrev_b32_e32 v16, 2, v16
	v_cndmask_b32_e64 v2, 0, 1, vcc_lo
	v_cmp_eq_u32_e32 vcc_lo, 0x40f, v29
	v_cmp_eq_u32_e64 s0, 3, v24
	v_lshrrev_b32_e32 v29, 16, v5
	v_and_or_b32 v2, 0xffe, v27, v2
	v_cndmask_b32_e32 v23, v23, v4, vcc_lo
	v_sub_nc_u32_e32 v4, 0x3f1, v28
	v_cmp_lt_i32_e32 vcc_lo, 5, v24
	v_or_b32_e32 v24, 0x1000, v2
	v_and_or_b32 v23, 0x8000, v29, v23
	v_med3_i32 v27, v4, 0, 13
	v_mul_f64 v[4:5], v[12:13], s[14:15]
	s_or_b32 vcc_lo, s0, vcc_lo
	v_add_co_ci_u32_e32 v12, vcc_lo, 0, v16, vcc_lo
	v_cmp_ne_u32_e32 vcc_lo, 0, v20
	v_lshrrev_b32_e32 v16, v27, v24
	s_waitcnt vmcnt(3)
	v_mul_f16_sdwa v20, v30, v7 dst_sel:DWORD dst_unused:UNUSED_PAD src0_sel:DWORD src1_sel:WORD_1
	v_and_b32_e32 v23, 0xffff, v23
	v_cndmask_b32_e64 v13, 0, 1, vcc_lo
	v_cmp_gt_i32_e32 vcc_lo, 31, v22
	v_lshlrev_b32_e32 v27, v27, v16
	v_fmac_f16_e32 v20, v17, v7
	v_mul_f16_sdwa v17, v17, v7 dst_sel:DWORD dst_unused:UNUSED_PAD src0_sel:DWORD src1_sel:WORD_1
	v_lshl_or_b32 v13, v13, 9, 0x7c00
	v_cndmask_b32_e32 v12, 0x7c00, v12, vcc_lo
	v_cmp_eq_u32_e32 vcc_lo, 0x40f, v22
	v_cvt_f32_f16_e32 v20, v20
	v_add_nc_u32_e32 v22, 0xfffffc10, v28
	v_fma_f16 v7, v7, v30, -v17
	v_cndmask_b32_e32 v12, v12, v13, vcc_lo
	v_cmp_ne_u32_e32 vcc_lo, v27, v24
	v_and_or_b32 v4, 0x1ff, v5, v4
	v_lshrrev_b32_e32 v13, 16, v21
	v_bfe_u32 v27, v5, 20, 11
	v_cvt_f32_f16_e32 v7, v7
	v_cndmask_b32_e64 v21, 0, 1, vcc_lo
	v_cmp_ne_u32_e32 vcc_lo, 0, v4
	v_and_or_b32 v24, 0x8000, v13, v12
	v_cvt_f64_f32_e32 v[12:13], v20
	v_lshl_or_b32 v20, v22, 12, v2
	v_or_b32_e32 v16, v16, v21
	v_cndmask_b32_e64 v4, 0, 1, vcc_lo
	v_lshrrev_b32_e32 v21, 8, v5
	v_cmp_gt_i32_e32 vcc_lo, 1, v22
	v_lshl_or_b32 v10, v24, 16, v23
	v_lshrrev_b32_e32 v5, 16, v5
	v_and_or_b32 v4, 0xffe, v21, v4
	v_cndmask_b32_e32 v16, v20, v16, vcc_lo
	v_sub_nc_u32_e32 v20, 0x3f1, v27
	v_add_co_u32 v18, vcc_lo, v18, s16
	v_or_b32_e32 v23, 0x1000, v4
	v_and_b32_e32 v21, 7, v16
	v_med3_i32 v20, v20, 0, 13
	v_add_co_ci_u32_e32 v19, vcc_lo, s17, v19, vcc_lo
	v_add_nc_u32_e32 v27, 0xfffffc10, v27
	v_cmp_lt_i32_e32 vcc_lo, 5, v21
	v_lshrrev_b32_e32 v24, v20, v23
	v_cmp_eq_u32_e64 s0, 3, v21
	v_mul_f64 v[12:13], v[12:13], s[14:15]
	global_store_dword v[18:19], v10, off
	v_lshrrev_b32_e32 v10, 2, v16
	v_lshlrev_b32_e32 v16, v20, v24
	s_or_b32 vcc_lo, s0, vcc_lo
	v_cvt_f64_f32_e32 v[20:21], v7
	v_add_co_ci_u32_e32 v10, vcc_lo, 0, v10, vcc_lo
	v_cmp_ne_u32_e32 vcc_lo, v16, v23
	v_add_nc_u32_e32 v16, 0x2200, v0
	v_add_nc_u32_e32 v0, 0x3140, v0
	v_cndmask_b32_e64 v23, 0, 1, vcc_lo
	v_cmp_ne_u32_e32 vcc_lo, 0, v2
	ds_read2_b32 v[16:17], v16 offset0:11 offset1:254
	v_or_b32_e32 v7, v24, v23
	v_cndmask_b32_e64 v2, 0, 1, vcc_lo
	v_cmp_gt_i32_e32 vcc_lo, 31, v22
	v_lshl_or_b32 v23, v27, 12, v4
	v_and_or_b32 v12, 0x1ff, v13, v12
	v_bfe_u32 v24, v13, 20, 11
	v_lshl_or_b32 v2, v2, 9, 0x7c00
	v_cndmask_b32_e32 v10, 0x7c00, v10, vcc_lo
	v_cmp_gt_i32_e32 vcc_lo, 1, v27
	v_sub_nc_u32_e32 v28, 0x3f1, v24
	v_add_nc_u32_e32 v24, 0xfffffc10, v24
	v_cndmask_b32_e32 v7, v23, v7, vcc_lo
	v_cmp_ne_u32_e32 vcc_lo, 0, v12
	v_lshrrev_b32_e32 v23, 8, v13
	v_lshrrev_b32_e32 v13, 16, v13
	s_waitcnt lgkmcnt(0)
	v_lshrrev_b32_e32 v29, 16, v16
	v_cndmask_b32_e64 v12, 0, 1, vcc_lo
	v_cmp_eq_u32_e32 vcc_lo, 0x40f, v22
	v_and_b32_e32 v22, 7, v7
	v_lshrrev_b32_e32 v7, 2, v7
	v_and_or_b32 v12, 0xffe, v23, v12
	v_cndmask_b32_e32 v10, v10, v2, vcc_lo
	v_cmp_lt_i32_e32 vcc_lo, 5, v22
	v_cmp_eq_u32_e64 s0, 3, v22
	v_lshrrev_b32_e32 v23, 16, v3
	v_mul_f64 v[2:3], v[20:21], s[14:15]
	v_or_b32_e32 v30, 0x1000, v12
	v_med3_i32 v20, v28, 0, 13
	s_waitcnt vmcnt(2)
	v_mul_f16_sdwa v21, v29, v6 dst_sel:DWORD dst_unused:UNUSED_PAD src0_sel:DWORD src1_sel:WORD_1
	s_or_b32 vcc_lo, s0, vcc_lo
	v_and_or_b32 v10, 0x8000, v23, v10
	v_add_co_ci_u32_e32 v7, vcc_lo, 0, v7, vcc_lo
	v_lshrrev_b32_e32 v22, v20, v30
	v_cmp_ne_u32_e32 vcc_lo, 0, v4
	v_fmac_f16_e32 v21, v16, v6
	v_mul_f16_sdwa v16, v16, v6 dst_sel:DWORD dst_unused:UNUSED_PAD src0_sel:DWORD src1_sel:WORD_1
	v_and_b32_e32 v10, 0xffff, v10
	v_lshlrev_b32_e32 v23, v20, v22
	v_cndmask_b32_e64 v4, 0, 1, vcc_lo
	v_cmp_gt_i32_e32 vcc_lo, 31, v27
	v_cvt_f32_f16_e32 v21, v21
	v_fma_f16 v16, v6, v29, -v16
	v_add_co_u32 v6, s1, v18, s16
	v_cndmask_b32_e32 v7, 0x7c00, v7, vcc_lo
	v_cmp_ne_u32_e32 vcc_lo, v23, v30
	v_cvt_f64_f32_e32 v[20:21], v21
	v_lshl_or_b32 v4, v4, 9, 0x7c00
	v_and_or_b32 v2, 0x1ff, v3, v2
	v_cvt_f32_f16_e32 v16, v16
	v_cndmask_b32_e64 v23, 0, 1, vcc_lo
	v_cmp_eq_u32_e32 vcc_lo, 0x40f, v27
	v_bfe_u32 v27, v3, 20, 11
	v_cndmask_b32_e32 v4, v7, v4, vcc_lo
	v_cmp_ne_u32_e32 vcc_lo, 0, v2
	v_or_b32_e32 v7, v22, v23
	v_lshrrev_b32_e32 v23, 8, v3
	v_lshl_or_b32 v22, v24, 12, v12
	v_cndmask_b32_e64 v2, 0, 1, vcc_lo
	v_cmp_gt_i32_e32 vcc_lo, 1, v24
	v_and_or_b32 v2, 0xffe, v23, v2
	v_sub_nc_u32_e32 v23, 0x3f1, v27
	v_cndmask_b32_e32 v22, v22, v7, vcc_lo
	v_and_or_b32 v7, 0x8000, v5, v4
	v_mul_f64 v[4:5], v[20:21], s[14:15]
	v_or_b32_e32 v30, 0x1000, v2
	v_med3_i32 v20, v23, 0, 13
	v_and_b32_e32 v28, 7, v22
	v_lshrrev_b32_e32 v18, 2, v22
	v_lshl_or_b32 v10, v7, 16, v10
	v_add_co_ci_u32_e64 v7, s1, s17, v19, s1
	v_lshrrev_b32_e32 v21, v20, v30
	v_cmp_lt_i32_e32 vcc_lo, 5, v28
	v_cmp_eq_u32_e64 s0, 3, v28
	v_lshlrev_b32_e32 v19, v20, v21
	s_or_b32 vcc_lo, s0, vcc_lo
	v_add_co_ci_u32_e32 v20, vcc_lo, 0, v18, vcc_lo
	v_cmp_ne_u32_e32 vcc_lo, v19, v30
	v_cvt_f64_f32_e32 v[18:19], v16
	v_add_nc_u32_e32 v16, 0xfffffc10, v27
	v_and_or_b32 v4, 0x1ff, v5, v4
	v_lshrrev_b32_e32 v23, 8, v5
	v_cndmask_b32_e64 v22, 0, 1, vcc_lo
	v_cmp_gt_i32_e32 vcc_lo, 31, v24
	v_bfe_u32 v27, v5, 20, 11
	v_or_b32_e32 v21, v21, v22
	v_cndmask_b32_e32 v20, 0x7c00, v20, vcc_lo
	v_cmp_ne_u32_e32 vcc_lo, 0, v4
	v_lshl_or_b32 v22, v16, 12, v2
	v_cndmask_b32_e64 v4, 0, 1, vcc_lo
	v_cmp_ne_u32_e32 vcc_lo, 0, v12
	v_and_or_b32 v4, 0xffe, v23, v4
	v_cndmask_b32_e64 v12, 0, 1, vcc_lo
	v_cmp_gt_i32_e32 vcc_lo, 1, v16
	v_lshrrev_b32_e32 v23, 16, v17
	v_mul_f64 v[18:19], v[18:19], s[14:15]
	v_or_b32_e32 v29, 0x1000, v4
	v_lshl_or_b32 v12, v12, 9, 0x7c00
	v_cndmask_b32_e32 v21, v22, v21, vcc_lo
	v_sub_nc_u32_e32 v22, 0x3f1, v27
	v_cmp_eq_u32_e32 vcc_lo, 0x40f, v24
	s_waitcnt vmcnt(1)
	v_mul_f16_sdwa v30, v23, v1 dst_sel:DWORD dst_unused:UNUSED_PAD src0_sel:DWORD src1_sel:WORD_1
	v_add_nc_u32_e32 v27, 0xfffffc10, v27
	v_and_b32_e32 v28, 7, v21
	v_med3_i32 v22, v22, 0, 13
	v_cndmask_b32_e32 v12, v20, v12, vcc_lo
	v_fmac_f16_e32 v30, v17, v1
	v_mul_f16_sdwa v17, v17, v1 dst_sel:DWORD dst_unused:UNUSED_PAD src0_sel:DWORD src1_sel:WORD_1
	v_cmp_lt_i32_e32 vcc_lo, 5, v28
	v_lshrrev_b32_e32 v20, v22, v29
	v_cmp_eq_u32_e64 s0, 3, v28
	v_and_or_b32 v24, 0x8000, v13, v12
	v_lshrrev_b32_e32 v12, 2, v21
	v_cvt_f32_f16_e32 v21, v30
	v_lshlrev_b32_e32 v13, v22, v20
	s_or_b32 vcc_lo, s0, vcc_lo
	v_fma_f16 v1, v1, v23, -v17
	v_add_co_ci_u32_e32 v22, vcc_lo, 0, v12, vcc_lo
	v_cmp_ne_u32_e32 vcc_lo, v13, v29
	v_cvt_f64_f32_e32 v[12:13], v21
	v_lshl_or_b32 v21, v27, 12, v4
	v_and_or_b32 v18, 0x1ff, v19, v18
	v_cvt_f32_f16_e32 v1, v1
	v_cndmask_b32_e64 v28, 0, 1, vcc_lo
	v_cmp_ne_u32_e32 vcc_lo, 0, v2
	v_lshrrev_b32_e32 v23, 16, v5
	v_or_b32_e32 v20, v20, v28
	v_cndmask_b32_e64 v2, 0, 1, vcc_lo
	v_cmp_gt_i32_e32 vcc_lo, 31, v16
	v_bfe_u32 v28, v19, 20, 11
	v_lshl_or_b32 v2, v2, 9, 0x7c00
	v_cndmask_b32_e32 v22, 0x7c00, v22, vcc_lo
	v_cmp_gt_i32_e32 vcc_lo, 1, v27
	v_cndmask_b32_e32 v20, v21, v20, vcc_lo
	v_cmp_ne_u32_e32 vcc_lo, 0, v18
	v_lshrrev_b32_e32 v21, 8, v19
	v_lshrrev_b32_e32 v19, 16, v19
	v_and_b32_e32 v29, 7, v20
	v_cndmask_b32_e64 v18, 0, 1, vcc_lo
	v_cmp_eq_u32_e32 vcc_lo, 0x40f, v16
	v_lshrrev_b32_e32 v20, 2, v20
	v_cmp_eq_u32_e64 s0, 3, v29
	v_and_or_b32 v18, 0xffe, v21, v18
	v_sub_nc_u32_e32 v21, 0x3f1, v28
	v_cndmask_b32_e32 v16, v22, v2, vcc_lo
	v_cmp_lt_i32_e32 vcc_lo, 5, v29
	v_lshrrev_b32_e32 v22, 16, v3
	v_mul_f64 v[2:3], v[12:13], s[14:15]
	v_or_b32_e32 v12, 0x1000, v18
	v_med3_i32 v13, v21, 0, 13
	s_or_b32 vcc_lo, s0, vcc_lo
	v_and_or_b32 v16, 0x8000, v22, v16
	v_add_co_ci_u32_e32 v20, vcc_lo, 0, v20, vcc_lo
	v_lshrrev_b32_e32 v22, v13, v12
	v_cmp_ne_u32_e32 vcc_lo, 0, v4
	v_and_b32_e32 v21, 0xffff, v24
	v_lshlrev_b32_e32 v13, v13, v22
	v_cndmask_b32_e64 v4, 0, 1, vcc_lo
	v_cmp_gt_i32_e32 vcc_lo, 31, v27
	v_lshl_or_b32 v21, v16, 16, v21
	v_lshl_or_b32 v4, v4, 9, 0x7c00
	v_cndmask_b32_e32 v16, 0x7c00, v20, vcc_lo
	v_cmp_ne_u32_e32 vcc_lo, v13, v12
	v_add_nc_u32_e32 v20, 0xfffffc10, v28
	v_and_or_b32 v2, 0x1ff, v3, v2
	v_lshrrev_b32_e32 v17, 8, v3
	v_cndmask_b32_e64 v12, 0, 1, vcc_lo
	v_cmp_eq_u32_e32 vcc_lo, 0x40f, v27
	v_cndmask_b32_e32 v13, v16, v4, vcc_lo
	v_cmp_ne_u32_e32 vcc_lo, 0, v2
	v_or_b32_e32 v4, v22, v12
	v_lshl_or_b32 v12, v20, 12, v18
	v_bfe_u32 v22, v3, 20, 11
	v_cvt_f64_f32_e32 v[1:2], v1
	v_cndmask_b32_e64 v16, 0, 1, vcc_lo
	v_cmp_gt_i32_e32 vcc_lo, 1, v20
	v_and_or_b32 v23, 0x8000, v23, v13
	v_lshrrev_b32_e32 v3, 16, v3
	v_and_or_b32 v17, 0xffe, v17, v16
	v_cndmask_b32_e32 v12, v12, v4, vcc_lo
	v_sub_nc_u32_e32 v4, 0x3f1, v22
	v_lshrrev_b32_e32 v16, 16, v15
	v_add_nc_u32_e32 v22, 0xfffffc10, v22
	v_or_b32_e32 v27, 0x1000, v17
	v_and_b32_e32 v24, 7, v12
	v_med3_i32 v28, v4, 0, 13
	s_waitcnt vmcnt(0)
	v_mul_f16_sdwa v29, v16, v34 dst_sel:DWORD dst_unused:UNUSED_PAD src0_sel:DWORD src1_sel:WORD_1
	v_add_co_u32 v4, vcc_lo, v6, s16
	v_add_co_ci_u32_e32 v5, vcc_lo, s17, v7, vcc_lo
	v_lshrrev_b32_e32 v30, v28, v27
	v_fmac_f16_e32 v29, v15, v34
	v_cmp_lt_i32_e32 vcc_lo, 5, v24
	v_cmp_eq_u32_e64 s0, 3, v24
	v_lshrrev_b32_e32 v12, 2, v12
	v_lshlrev_b32_e32 v24, v28, v30
	v_cvt_f32_f16_e32 v13, v29
	v_mul_f64 v[1:2], v[1:2], s[14:15]
	s_or_b32 vcc_lo, s0, vcc_lo
	v_mul_f16_sdwa v15, v15, v34 dst_sel:DWORD dst_unused:UNUSED_PAD src0_sel:DWORD src1_sel:WORD_1
	v_add_co_ci_u32_e32 v28, vcc_lo, 0, v12, vcc_lo
	v_cmp_ne_u32_e32 vcc_lo, v24, v27
	v_cvt_f64_f32_e32 v[12:13], v13
	v_lshl_or_b32 v27, v22, 12, v17
	v_fma_f16 v15, v34, v16, -v15
	v_cndmask_b32_e64 v24, 0, 1, vcc_lo
	v_cmp_ne_u32_e32 vcc_lo, 0, v18
	v_cvt_f32_f16_e32 v15, v15
	v_or_b32_e32 v24, v30, v24
	v_cndmask_b32_e64 v18, 0, 1, vcc_lo
	v_cmp_gt_i32_e32 vcc_lo, 31, v20
	v_lshl_or_b32 v18, v18, 9, 0x7c00
	v_cndmask_b32_e32 v16, 0x7c00, v28, vcc_lo
	v_cmp_gt_i32_e32 vcc_lo, 1, v22
	v_and_or_b32 v1, 0x1ff, v2, v1
	v_bfe_u32 v28, v2, 20, 11
	v_cndmask_b32_e32 v24, v27, v24, vcc_lo
	v_cmp_eq_u32_e32 vcc_lo, 0x40f, v20
	v_mul_f64 v[12:13], v[12:13], s[14:15]
	v_lshrrev_b32_e32 v27, 8, v2
	v_lshrrev_b32_e32 v2, 16, v2
	v_and_b32_e32 v20, 7, v24
	v_cndmask_b32_e32 v18, v16, v18, vcc_lo
	v_cvt_f64_f32_e32 v[15:16], v15
	v_cmp_ne_u32_e32 vcc_lo, 0, v1
	v_cmp_eq_u32_e64 s0, 3, v20
	v_and_or_b32 v18, 0x8000, v19, v18
	v_and_b32_e32 v19, 0xffff, v23
	v_cndmask_b32_e64 v1, 0, 1, vcc_lo
	v_cmp_lt_i32_e32 vcc_lo, 5, v20
	v_sub_nc_u32_e32 v23, 0x3f1, v28
	v_lshl_or_b32 v18, v18, 16, v19
	v_lshrrev_b32_e32 v19, 2, v24
	v_and_or_b32 v1, 0xffe, v27, v1
	s_or_b32 vcc_lo, s0, vcc_lo
	v_med3_i32 v23, v23, 0, 13
	v_add_co_ci_u32_e32 v19, vcc_lo, 0, v19, vcc_lo
	v_or_b32_e32 v20, 0x1000, v1
	v_cmp_ne_u32_e32 vcc_lo, 0, v17
	v_and_or_b32 v12, 0x1ff, v13, v12
	v_lshrrev_b32_e32 v27, 8, v13
	v_mul_f64 v[15:16], v[15:16], s[14:15]
	v_lshrrev_b32_e32 v24, v23, v20
	v_cndmask_b32_e64 v17, 0, 1, vcc_lo
	v_cmp_gt_i32_e32 vcc_lo, 31, v22
	v_bfe_u32 v29, v13, 20, 11
	v_lshrrev_b32_e32 v13, 16, v13
	v_lshlrev_b32_e32 v23, v23, v24
	v_lshl_or_b32 v17, v17, 9, 0x7c00
	v_cndmask_b32_e32 v19, 0x7c00, v19, vcc_lo
	v_cmp_ne_u32_e32 vcc_lo, 0, v12
	v_cndmask_b32_e64 v12, 0, 1, vcc_lo
	v_cmp_ne_u32_e32 vcc_lo, v23, v20
	v_add_nc_u32_e32 v23, 0xfffffc10, v28
	v_and_or_b32 v12, 0xffe, v27, v12
	v_cndmask_b32_e64 v20, 0, 1, vcc_lo
	v_sub_nc_u32_e32 v27, 0x3f1, v29
	v_cmp_eq_u32_e32 vcc_lo, 0x40f, v22
	v_and_or_b32 v15, 0x1ff, v16, v15
	v_or_b32_e32 v22, 0x1000, v12
	v_bfe_u32 v28, v16, 20, 11
	v_cndmask_b32_e32 v17, v19, v17, vcc_lo
	v_or_b32_e32 v19, v24, v20
	v_lshl_or_b32 v20, v23, 12, v1
	v_med3_i32 v24, v27, 0, 13
	v_cmp_gt_i32_e32 vcc_lo, 1, v23
	v_lshrrev_b32_e32 v27, 8, v16
	v_and_or_b32 v3, 0x8000, v3, v17
	v_sub_nc_u32_e32 v17, 0x3f1, v28
	v_cndmask_b32_e32 v19, v20, v19, vcc_lo
	v_lshrrev_b32_e32 v20, v24, v22
	v_cmp_ne_u32_e32 vcc_lo, 0, v15
	v_med3_i32 v17, v17, 0, 13
	v_and_b32_e32 v3, 0xffff, v3
	v_and_b32_e32 v30, 7, v19
	v_lshlrev_b32_e32 v24, v24, v20
	v_cndmask_b32_e64 v15, 0, 1, vcc_lo
	v_lshrrev_b32_e32 v19, 2, v19
	v_cmp_lt_i32_e32 vcc_lo, 5, v30
	v_cmp_ne_u32_e64 s0, v24, v22
	v_and_or_b32 v15, 0xffe, v27, v15
	v_add_nc_u32_e32 v27, 0xfffffc10, v29
	v_cndmask_b32_e64 v22, 0, 1, s0
	v_cmp_eq_u32_e64 s0, 3, v30
	v_or_b32_e32 v24, 0x1000, v15
	v_lshl_or_b32 v29, v27, 12, v12
	v_or_b32_e32 v20, v20, v22
	s_or_b32 vcc_lo, s0, vcc_lo
	v_lshrrev_b32_e32 v22, v17, v24
	v_add_co_ci_u32_e32 v19, vcc_lo, 0, v19, vcc_lo
	v_cmp_gt_i32_e32 vcc_lo, 1, v27
	v_lshlrev_b32_e32 v17, v17, v22
	v_cndmask_b32_e32 v20, v29, v20, vcc_lo
	v_cmp_ne_u32_e32 vcc_lo, 0, v1
	v_cndmask_b32_e64 v1, 0, 1, vcc_lo
	v_cmp_ne_u32_e32 vcc_lo, v17, v24
	v_add_nc_u32_e32 v24, 0xfffffc10, v28
	v_and_b32_e32 v28, 7, v20
	v_lshl_or_b32 v1, v1, 9, 0x7c00
	v_cndmask_b32_e64 v17, 0, 1, vcc_lo
	v_cmp_gt_i32_e32 vcc_lo, 31, v23
	v_cmp_gt_i32_e64 s1, 1, v24
	v_cmp_eq_u32_e64 s0, 3, v28
	v_or_b32_e32 v17, v22, v17
	v_lshl_or_b32 v22, v24, 12, v15
	v_cndmask_b32_e32 v19, 0x7c00, v19, vcc_lo
	v_cmp_lt_i32_e32 vcc_lo, 5, v28
	v_cndmask_b32_e64 v17, v22, v17, s1
	v_cmp_eq_u32_e64 s1, 0x40f, v23
	s_or_b32 vcc_lo, s0, vcc_lo
	v_cndmask_b32_e64 v1, v19, v1, s1
	v_lshrrev_b32_e32 v19, 2, v20
	v_and_b32_e32 v20, 7, v17
	v_lshrrev_b32_e32 v17, 2, v17
	v_cmp_gt_i32_e64 s1, 31, v27
	v_add_co_ci_u32_e32 v19, vcc_lo, 0, v19, vcc_lo
	v_cmp_ne_u32_e32 vcc_lo, 0, v12
	v_cmp_eq_u32_e64 s0, 3, v20
	v_cndmask_b32_e64 v19, 0x7c00, v19, s1
	v_cndmask_b32_e64 v12, 0, 1, vcc_lo
	v_cmp_lt_i32_e32 vcc_lo, 5, v20
	v_lshl_or_b32 v12, v12, 9, 0x7c00
	s_or_b32 vcc_lo, s0, vcc_lo
	v_add_co_ci_u32_e32 v17, vcc_lo, 0, v17, vcc_lo
	v_cmp_ne_u32_e32 vcc_lo, 0, v15
	v_cndmask_b32_e64 v15, 0, 1, vcc_lo
	v_cmp_eq_u32_e32 vcc_lo, 0x40f, v27
	v_lshl_or_b32 v15, v15, 9, 0x7c00
	v_cndmask_b32_e32 v12, v19, v12, vcc_lo
	v_cmp_gt_i32_e32 vcc_lo, 31, v24
	v_and_or_b32 v19, 0x8000, v2, v1
	v_and_or_b32 v12, 0x8000, v13, v12
	v_cndmask_b32_e32 v17, 0x7c00, v17, vcc_lo
	v_cmp_eq_u32_e32 vcc_lo, 0x40f, v24
	v_lshl_or_b32 v3, v19, 16, v3
	v_cndmask_b32_e32 v13, v17, v15, vcc_lo
	v_lshrrev_b32_e32 v15, 16, v16
	v_add_co_u32 v1, vcc_lo, v4, s16
	v_add_co_ci_u32_e32 v2, vcc_lo, s17, v5, vcc_lo
	v_and_or_b32 v15, 0x8000, v15, v13
	v_and_b32_e32 v16, 0xffff, v12
	v_add_co_u32 v12, vcc_lo, v1, s16
	v_add_co_ci_u32_e32 v13, vcc_lo, s17, v2, vcc_lo
	v_lshl_or_b32 v17, v15, 16, v16
	v_add_co_u32 v15, vcc_lo, v12, s16
	v_add_co_ci_u32_e32 v16, vcc_lo, s17, v13, vcc_lo
	global_store_dword v[6:7], v10, off
	global_store_dword v[4:5], v21, off
	;; [unrolled: 1-line block ×5, first 2 shown]
	global_load_dword v1, v[25:26], off offset:1424
	v_lshrrev_b32_e32 v2, 16, v14
	s_waitcnt vmcnt(0)
	v_mul_f16_sdwa v3, v2, v1 dst_sel:DWORD dst_unused:UNUSED_PAD src0_sel:DWORD src1_sel:WORD_1
	v_mul_f16_sdwa v4, v14, v1 dst_sel:DWORD dst_unused:UNUSED_PAD src0_sel:DWORD src1_sel:WORD_1
	v_fmac_f16_e32 v3, v14, v1
	v_fma_f16 v1, v1, v2, -v4
	v_cvt_f32_f16_e32 v2, v3
	v_cvt_f32_f16_e32 v3, v1
	v_cvt_f64_f32_e32 v[1:2], v2
	v_cvt_f64_f32_e32 v[3:4], v3
	v_mul_f64 v[1:2], v[1:2], s[14:15]
	v_mul_f64 v[3:4], v[3:4], s[14:15]
	v_and_or_b32 v1, 0x1ff, v2, v1
	v_and_or_b32 v3, 0x1ff, v4, v3
	v_lshrrev_b32_e32 v5, 8, v2
	v_bfe_u32 v6, v2, 20, 11
	v_lshrrev_b32_e32 v7, 8, v4
	v_cmp_ne_u32_e32 vcc_lo, 0, v1
	v_bfe_u32 v10, v4, 20, 11
	v_lshrrev_b32_e32 v2, 16, v2
	v_lshrrev_b32_e32 v4, 16, v4
	v_cndmask_b32_e64 v1, 0, 1, vcc_lo
	v_cmp_ne_u32_e32 vcc_lo, 0, v3
	v_and_or_b32 v1, 0xffe, v5, v1
	v_cndmask_b32_e64 v3, 0, 1, vcc_lo
	v_sub_nc_u32_e32 v5, 0x3f1, v6
	v_add_nc_u32_e32 v6, 0xfffffc10, v6
	v_or_b32_e32 v12, 0x1000, v1
	v_and_or_b32 v3, 0xffe, v7, v3
	v_sub_nc_u32_e32 v7, 0x3f1, v10
	v_med3_i32 v5, v5, 0, 13
	v_add_nc_u32_e32 v10, 0xfffffc10, v10
	v_or_b32_e32 v13, 0x1000, v3
	v_med3_i32 v7, v7, 0, 13
	v_lshrrev_b32_e32 v14, v5, v12
	v_lshrrev_b32_e32 v17, v7, v13
	v_lshlrev_b32_e32 v5, v5, v14
	v_lshlrev_b32_e32 v7, v7, v17
	v_cmp_ne_u32_e32 vcc_lo, v5, v12
	v_lshl_or_b32 v12, v6, 12, v1
	v_cndmask_b32_e64 v5, 0, 1, vcc_lo
	v_cmp_ne_u32_e32 vcc_lo, v7, v13
	v_lshl_or_b32 v13, v10, 12, v3
	v_or_b32_e32 v5, v14, v5
	v_cndmask_b32_e64 v7, 0, 1, vcc_lo
	v_cmp_gt_i32_e32 vcc_lo, 1, v6
	v_or_b32_e32 v7, v17, v7
	v_cndmask_b32_e32 v5, v12, v5, vcc_lo
	v_cmp_gt_i32_e32 vcc_lo, 1, v10
	v_and_b32_e32 v12, 7, v5
	v_cndmask_b32_e32 v7, v13, v7, vcc_lo
	v_lshrrev_b32_e32 v5, 2, v5
	v_cmp_lt_i32_e32 vcc_lo, 5, v12
	v_cmp_eq_u32_e64 s0, 3, v12
	v_and_b32_e32 v13, 7, v7
	v_lshrrev_b32_e32 v7, 2, v7
	s_or_b32 vcc_lo, s0, vcc_lo
	v_cmp_lt_i32_e64 s1, 5, v13
	v_add_co_ci_u32_e32 v5, vcc_lo, 0, v5, vcc_lo
	v_cmp_eq_u32_e64 s2, 3, v13
	v_cmp_ne_u32_e32 vcc_lo, 0, v1
	v_cndmask_b32_e64 v1, 0, 1, vcc_lo
	s_or_b32 vcc_lo, s2, s1
	v_add_co_ci_u32_e32 v7, vcc_lo, 0, v7, vcc_lo
	v_cmp_ne_u32_e32 vcc_lo, 0, v3
	v_lshl_or_b32 v1, v1, 9, 0x7c00
	v_cndmask_b32_e64 v3, 0, 1, vcc_lo
	v_cmp_gt_i32_e32 vcc_lo, 31, v6
	v_lshl_or_b32 v3, v3, 9, 0x7c00
	v_cndmask_b32_e32 v5, 0x7c00, v5, vcc_lo
	v_cmp_gt_i32_e32 vcc_lo, 31, v10
	v_cndmask_b32_e32 v7, 0x7c00, v7, vcc_lo
	v_cmp_eq_u32_e32 vcc_lo, 0x40f, v6
	v_cndmask_b32_e32 v1, v5, v1, vcc_lo
	v_cmp_eq_u32_e32 vcc_lo, 0x40f, v10
	v_and_or_b32 v1, 0x8000, v2, v1
	v_cndmask_b32_e32 v3, v7, v3, vcc_lo
	v_and_b32_e32 v1, 0xffff, v1
	v_and_or_b32 v2, 0x8000, v4, v3
	v_lshl_or_b32 v5, v2, 16, v1
	v_add_co_u32 v1, vcc_lo, v15, s16
	v_add_co_ci_u32_e32 v2, vcc_lo, s17, v16, vcc_lo
	v_add_co_u32 v3, vcc_lo, 0x3000, v8
	v_add_co_ci_u32_e32 v4, vcc_lo, 0, v9, vcc_lo
	global_store_dword v[1:2], v5, off
	ds_read2_b32 v[5:6], v0 offset0:7 offset1:250
	global_load_dword v7, v[3:4], off offset:348
	s_waitcnt lgkmcnt(0)
	v_lshrrev_b32_e32 v0, 16, v5
	s_waitcnt vmcnt(0)
	v_mul_f16_sdwa v10, v0, v7 dst_sel:DWORD dst_unused:UNUSED_PAD src0_sel:DWORD src1_sel:WORD_1
	v_mul_f16_sdwa v12, v5, v7 dst_sel:DWORD dst_unused:UNUSED_PAD src0_sel:DWORD src1_sel:WORD_1
	v_fmac_f16_e32 v10, v5, v7
	v_fma_f16 v0, v7, v0, -v12
	v_cvt_f32_f16_e32 v5, v10
	v_cvt_f32_f16_e32 v0, v0
	v_cvt_f64_f32_e32 v[12:13], v5
	v_cvt_f64_f32_e32 v[14:15], v0
	v_mul_f64 v[12:13], v[12:13], s[14:15]
	v_mul_f64 v[14:15], v[14:15], s[14:15]
	v_and_or_b32 v0, 0x1ff, v13, v12
	v_and_or_b32 v10, 0x1ff, v15, v14
	v_lshrrev_b32_e32 v5, 8, v13
	v_bfe_u32 v7, v13, 20, 11
	v_lshrrev_b32_e32 v12, 8, v15
	v_cmp_ne_u32_e32 vcc_lo, 0, v0
	v_bfe_u32 v14, v15, 20, 11
	v_lshrrev_b32_e32 v13, 16, v13
	v_sub_nc_u32_e32 v16, 0x3f1, v7
	v_add_nc_u32_e32 v7, 0xfffffc10, v7
	v_cndmask_b32_e64 v0, 0, 1, vcc_lo
	v_cmp_ne_u32_e32 vcc_lo, 0, v10
	v_and_or_b32 v0, 0xffe, v5, v0
	v_cndmask_b32_e64 v10, 0, 1, vcc_lo
	v_sub_nc_u32_e32 v5, 0x3f1, v14
	v_add_nc_u32_e32 v14, 0xfffffc10, v14
	v_and_or_b32 v10, 0xffe, v12, v10
	v_med3_i32 v12, v16, 0, 13
	v_or_b32_e32 v16, 0x1000, v0
	v_med3_i32 v5, v5, 0, 13
	v_or_b32_e32 v17, 0x1000, v10
	v_lshrrev_b32_e32 v18, v12, v16
	v_lshrrev_b32_e32 v19, v5, v17
	v_lshlrev_b32_e32 v12, v12, v18
	v_lshlrev_b32_e32 v5, v5, v19
	v_cmp_ne_u32_e32 vcc_lo, v12, v16
	v_lshl_or_b32 v16, v7, 12, v0
	v_cndmask_b32_e64 v12, 0, 1, vcc_lo
	v_cmp_ne_u32_e32 vcc_lo, v5, v17
	v_lshl_or_b32 v17, v14, 12, v10
	v_or_b32_e32 v12, v18, v12
	v_cndmask_b32_e64 v5, 0, 1, vcc_lo
	v_cmp_gt_i32_e32 vcc_lo, 1, v7
	v_or_b32_e32 v5, v19, v5
	v_cndmask_b32_e32 v12, v16, v12, vcc_lo
	v_cmp_gt_i32_e32 vcc_lo, 1, v14
	v_and_b32_e32 v16, 7, v12
	v_cndmask_b32_e32 v5, v17, v5, vcc_lo
	v_cmp_ne_u32_e32 vcc_lo, 0, v0
	v_lshrrev_b32_e32 v12, 2, v12
	v_cmp_eq_u32_e64 s0, 3, v16
	v_and_b32_e32 v17, 7, v5
	v_cndmask_b32_e64 v0, 0, 1, vcc_lo
	v_cmp_ne_u32_e32 vcc_lo, 0, v10
	v_lshrrev_b32_e32 v5, 2, v5
	v_cmp_lt_i32_e64 s1, 5, v17
	v_cmp_eq_u32_e64 s2, 3, v17
	v_cndmask_b32_e64 v10, 0, 1, vcc_lo
	v_cmp_lt_i32_e32 vcc_lo, 5, v16
	v_lshl_or_b32 v0, v0, 9, 0x7c00
	v_lshl_or_b32 v10, v10, 9, 0x7c00
	s_or_b32 vcc_lo, s0, vcc_lo
	v_add_co_ci_u32_e32 v12, vcc_lo, 0, v12, vcc_lo
	s_or_b32 vcc_lo, s2, s1
	v_add_co_ci_u32_e32 v5, vcc_lo, 0, v5, vcc_lo
	v_cmp_gt_i32_e32 vcc_lo, 31, v7
	v_cndmask_b32_e32 v12, 0x7c00, v12, vcc_lo
	v_cmp_gt_i32_e32 vcc_lo, 31, v14
	v_cndmask_b32_e32 v5, 0x7c00, v5, vcc_lo
	v_cmp_eq_u32_e32 vcc_lo, 0x40f, v7
	v_lshrrev_b32_e32 v7, 16, v15
	v_cndmask_b32_e32 v0, v12, v0, vcc_lo
	v_cmp_eq_u32_e32 vcc_lo, 0x40f, v14
	v_and_or_b32 v0, 0x8000, v13, v0
	v_cndmask_b32_e32 v5, v5, v10, vcc_lo
	v_and_or_b32 v5, 0x8000, v7, v5
	v_and_b32_e32 v7, 0xffff, v0
	v_add_co_u32 v0, vcc_lo, v1, s16
	v_add_co_ci_u32_e32 v1, vcc_lo, s17, v2, vcc_lo
	v_lshl_or_b32 v2, v5, 16, v7
	global_store_dword v[0:1], v2, off
	global_load_dword v2, v[3:4], off offset:1320
	v_lshrrev_b32_e32 v3, 16, v6
	s_waitcnt vmcnt(0)
	v_mul_f16_sdwa v4, v3, v2 dst_sel:DWORD dst_unused:UNUSED_PAD src0_sel:DWORD src1_sel:WORD_1
	v_mul_f16_sdwa v5, v6, v2 dst_sel:DWORD dst_unused:UNUSED_PAD src0_sel:DWORD src1_sel:WORD_1
	v_fmac_f16_e32 v4, v6, v2
	v_fma_f16 v2, v2, v3, -v5
	v_cvt_f32_f16_e32 v3, v4
	v_cvt_f32_f16_e32 v4, v2
	v_cvt_f64_f32_e32 v[2:3], v3
	v_cvt_f64_f32_e32 v[4:5], v4
	v_mul_f64 v[2:3], v[2:3], s[14:15]
	v_mul_f64 v[4:5], v[4:5], s[14:15]
	v_and_or_b32 v2, 0x1ff, v3, v2
	v_and_or_b32 v4, 0x1ff, v5, v4
	v_lshrrev_b32_e32 v6, 8, v3
	v_bfe_u32 v7, v3, 20, 11
	v_lshrrev_b32_e32 v10, 8, v5
	v_cmp_ne_u32_e32 vcc_lo, 0, v2
	v_bfe_u32 v12, v5, 20, 11
	v_lshrrev_b32_e32 v3, 16, v3
	v_sub_nc_u32_e32 v13, 0x3f1, v7
	v_add_nc_u32_e32 v7, 0xfffffc10, v7
	v_cndmask_b32_e64 v2, 0, 1, vcc_lo
	v_cmp_ne_u32_e32 vcc_lo, 0, v4
	v_lshrrev_b32_e32 v5, 16, v5
	v_and_or_b32 v2, 0xffe, v6, v2
	v_cndmask_b32_e64 v4, 0, 1, vcc_lo
	v_sub_nc_u32_e32 v6, 0x3f1, v12
	v_add_nc_u32_e32 v12, 0xfffffc10, v12
	v_and_or_b32 v4, 0xffe, v10, v4
	v_med3_i32 v10, v13, 0, 13
	v_or_b32_e32 v13, 0x1000, v2
	v_med3_i32 v6, v6, 0, 13
	v_or_b32_e32 v14, 0x1000, v4
	v_lshrrev_b32_e32 v15, v10, v13
	v_lshrrev_b32_e32 v16, v6, v14
	v_lshlrev_b32_e32 v10, v10, v15
	v_lshlrev_b32_e32 v6, v6, v16
	v_cmp_ne_u32_e32 vcc_lo, v10, v13
	v_lshl_or_b32 v13, v7, 12, v2
	v_cndmask_b32_e64 v10, 0, 1, vcc_lo
	v_cmp_ne_u32_e32 vcc_lo, v6, v14
	v_lshl_or_b32 v14, v12, 12, v4
	v_or_b32_e32 v10, v15, v10
	v_cndmask_b32_e64 v6, 0, 1, vcc_lo
	v_cmp_gt_i32_e32 vcc_lo, 1, v7
	v_or_b32_e32 v6, v16, v6
	v_cndmask_b32_e32 v10, v13, v10, vcc_lo
	v_cmp_gt_i32_e32 vcc_lo, 1, v12
	v_and_b32_e32 v13, 7, v10
	v_cndmask_b32_e32 v6, v14, v6, vcc_lo
	v_cmp_ne_u32_e32 vcc_lo, 0, v2
	v_lshrrev_b32_e32 v10, 2, v10
	v_cmp_eq_u32_e64 s0, 3, v13
	v_and_b32_e32 v14, 7, v6
	v_cndmask_b32_e64 v2, 0, 1, vcc_lo
	v_cmp_ne_u32_e32 vcc_lo, 0, v4
	v_lshrrev_b32_e32 v6, 2, v6
	v_cmp_lt_i32_e64 s1, 5, v14
	v_cmp_eq_u32_e64 s2, 3, v14
	v_cndmask_b32_e64 v4, 0, 1, vcc_lo
	v_cmp_lt_i32_e32 vcc_lo, 5, v13
	v_lshl_or_b32 v2, v2, 9, 0x7c00
	v_lshl_or_b32 v4, v4, 9, 0x7c00
	s_or_b32 vcc_lo, s0, vcc_lo
	v_add_co_ci_u32_e32 v10, vcc_lo, 0, v10, vcc_lo
	s_or_b32 vcc_lo, s2, s1
	v_add_co_ci_u32_e32 v6, vcc_lo, 0, v6, vcc_lo
	v_cmp_gt_i32_e32 vcc_lo, 31, v7
	v_cndmask_b32_e32 v10, 0x7c00, v10, vcc_lo
	v_cmp_gt_i32_e32 vcc_lo, 31, v12
	v_cndmask_b32_e32 v6, 0x7c00, v6, vcc_lo
	v_cmp_eq_u32_e32 vcc_lo, 0x40f, v7
	v_cndmask_b32_e32 v2, v10, v2, vcc_lo
	v_cmp_eq_u32_e32 vcc_lo, 0x40f, v12
	v_and_or_b32 v2, 0x8000, v3, v2
	v_cndmask_b32_e32 v4, v6, v4, vcc_lo
	v_add_co_u32 v0, vcc_lo, v0, s16
	v_add_co_ci_u32_e32 v1, vcc_lo, s17, v1, vcc_lo
	v_and_or_b32 v3, 0x8000, v5, v4
	v_and_b32_e32 v2, 0xffff, v2
	v_lshl_or_b32 v4, v3, 16, v2
	v_add_co_u32 v2, vcc_lo, 0x3800, v8
	v_add_co_ci_u32_e32 v3, vcc_lo, 0, v9, vcc_lo
	global_store_dword v[0:1], v4, off
	global_load_dword v2, v[2:3], off offset:244
	v_lshrrev_b32_e32 v3, 16, v11
	s_waitcnt vmcnt(0)
	v_mul_f16_sdwa v4, v3, v2 dst_sel:DWORD dst_unused:UNUSED_PAD src0_sel:DWORD src1_sel:WORD_1
	v_mul_f16_sdwa v5, v11, v2 dst_sel:DWORD dst_unused:UNUSED_PAD src0_sel:DWORD src1_sel:WORD_1
	v_fmac_f16_e32 v4, v11, v2
	v_fma_f16 v2, v2, v3, -v5
	v_cvt_f32_f16_e32 v3, v4
	v_cvt_f32_f16_e32 v4, v2
	v_cvt_f64_f32_e32 v[2:3], v3
	v_cvt_f64_f32_e32 v[4:5], v4
	v_mul_f64 v[2:3], v[2:3], s[14:15]
	v_mul_f64 v[4:5], v[4:5], s[14:15]
	v_and_or_b32 v2, 0x1ff, v3, v2
	v_and_or_b32 v4, 0x1ff, v5, v4
	v_lshrrev_b32_e32 v6, 8, v3
	v_bfe_u32 v7, v3, 20, 11
	v_lshrrev_b32_e32 v8, 8, v5
	v_cmp_ne_u32_e32 vcc_lo, 0, v2
	v_bfe_u32 v9, v5, 20, 11
	v_lshrrev_b32_e32 v3, 16, v3
	v_sub_nc_u32_e32 v10, 0x3f1, v7
	v_add_nc_u32_e32 v7, 0xfffffc10, v7
	v_cndmask_b32_e64 v2, 0, 1, vcc_lo
	v_cmp_ne_u32_e32 vcc_lo, 0, v4
	v_lshrrev_b32_e32 v5, 16, v5
	v_and_or_b32 v2, 0xffe, v6, v2
	v_cndmask_b32_e64 v4, 0, 1, vcc_lo
	v_sub_nc_u32_e32 v6, 0x3f1, v9
	v_add_nc_u32_e32 v9, 0xfffffc10, v9
	v_and_or_b32 v4, 0xffe, v8, v4
	v_med3_i32 v8, v10, 0, 13
	v_or_b32_e32 v10, 0x1000, v2
	v_med3_i32 v6, v6, 0, 13
	v_or_b32_e32 v11, 0x1000, v4
	v_lshrrev_b32_e32 v12, v8, v10
	v_lshrrev_b32_e32 v13, v6, v11
	v_lshlrev_b32_e32 v8, v8, v12
	v_lshlrev_b32_e32 v6, v6, v13
	v_cmp_ne_u32_e32 vcc_lo, v8, v10
	v_lshl_or_b32 v10, v7, 12, v2
	v_cndmask_b32_e64 v8, 0, 1, vcc_lo
	v_cmp_ne_u32_e32 vcc_lo, v6, v11
	v_lshl_or_b32 v11, v9, 12, v4
	v_or_b32_e32 v8, v12, v8
	v_cndmask_b32_e64 v6, 0, 1, vcc_lo
	v_cmp_gt_i32_e32 vcc_lo, 1, v7
	v_or_b32_e32 v6, v13, v6
	v_cndmask_b32_e32 v8, v10, v8, vcc_lo
	v_cmp_gt_i32_e32 vcc_lo, 1, v9
	v_and_b32_e32 v10, 7, v8
	v_cndmask_b32_e32 v6, v11, v6, vcc_lo
	v_cmp_ne_u32_e32 vcc_lo, 0, v2
	v_lshrrev_b32_e32 v8, 2, v8
	v_cmp_eq_u32_e64 s0, 3, v10
	v_and_b32_e32 v11, 7, v6
	v_cndmask_b32_e64 v2, 0, 1, vcc_lo
	v_cmp_ne_u32_e32 vcc_lo, 0, v4
	v_lshrrev_b32_e32 v6, 2, v6
	v_cmp_lt_i32_e64 s1, 5, v11
	v_cmp_eq_u32_e64 s2, 3, v11
	v_cndmask_b32_e64 v4, 0, 1, vcc_lo
	v_cmp_lt_i32_e32 vcc_lo, 5, v10
	v_lshl_or_b32 v2, v2, 9, 0x7c00
	v_lshl_or_b32 v4, v4, 9, 0x7c00
	s_or_b32 vcc_lo, s0, vcc_lo
	v_add_co_ci_u32_e32 v8, vcc_lo, 0, v8, vcc_lo
	s_or_b32 vcc_lo, s2, s1
	v_add_co_ci_u32_e32 v6, vcc_lo, 0, v6, vcc_lo
	v_cmp_gt_i32_e32 vcc_lo, 31, v7
	v_cndmask_b32_e32 v8, 0x7c00, v8, vcc_lo
	v_cmp_gt_i32_e32 vcc_lo, 31, v9
	v_cndmask_b32_e32 v6, 0x7c00, v6, vcc_lo
	v_cmp_eq_u32_e32 vcc_lo, 0x40f, v7
	v_cndmask_b32_e32 v2, v8, v2, vcc_lo
	v_cmp_eq_u32_e32 vcc_lo, 0x40f, v9
	v_and_or_b32 v2, 0x8000, v3, v2
	v_cndmask_b32_e32 v4, v6, v4, vcc_lo
	v_add_co_u32 v0, vcc_lo, v0, s16
	v_add_co_ci_u32_e32 v1, vcc_lo, s17, v1, vcc_lo
	v_and_or_b32 v3, 0x8000, v5, v4
	v_and_b32_e32 v2, 0xffff, v2
	v_lshl_or_b32 v2, v3, 16, v2
	global_store_dword v[0:1], v2, off
.LBB0_15:
	s_endpgm
	.section	.rodata,"a",@progbits
	.p2align	6, 0x0
	.amdhsa_kernel bluestein_single_fwd_len3888_dim1_half_op_CI_CI
		.amdhsa_group_segment_fixed_size 15552
		.amdhsa_private_segment_fixed_size 0
		.amdhsa_kernarg_size 104
		.amdhsa_user_sgpr_count 6
		.amdhsa_user_sgpr_private_segment_buffer 1
		.amdhsa_user_sgpr_dispatch_ptr 0
		.amdhsa_user_sgpr_queue_ptr 0
		.amdhsa_user_sgpr_kernarg_segment_ptr 1
		.amdhsa_user_sgpr_dispatch_id 0
		.amdhsa_user_sgpr_flat_scratch_init 0
		.amdhsa_user_sgpr_private_segment_size 0
		.amdhsa_wavefront_size32 1
		.amdhsa_uses_dynamic_stack 0
		.amdhsa_system_sgpr_private_segment_wavefront_offset 0
		.amdhsa_system_sgpr_workgroup_id_x 1
		.amdhsa_system_sgpr_workgroup_id_y 0
		.amdhsa_system_sgpr_workgroup_id_z 0
		.amdhsa_system_sgpr_workgroup_info 0
		.amdhsa_system_vgpr_workitem_id 0
		.amdhsa_next_free_vgpr 119
		.amdhsa_next_free_sgpr 18
		.amdhsa_reserve_vcc 1
		.amdhsa_reserve_flat_scratch 0
		.amdhsa_float_round_mode_32 0
		.amdhsa_float_round_mode_16_64 0
		.amdhsa_float_denorm_mode_32 3
		.amdhsa_float_denorm_mode_16_64 3
		.amdhsa_dx10_clamp 1
		.amdhsa_ieee_mode 1
		.amdhsa_fp16_overflow 0
		.amdhsa_workgroup_processor_mode 1
		.amdhsa_memory_ordered 1
		.amdhsa_forward_progress 0
		.amdhsa_shared_vgpr_count 0
		.amdhsa_exception_fp_ieee_invalid_op 0
		.amdhsa_exception_fp_denorm_src 0
		.amdhsa_exception_fp_ieee_div_zero 0
		.amdhsa_exception_fp_ieee_overflow 0
		.amdhsa_exception_fp_ieee_underflow 0
		.amdhsa_exception_fp_ieee_inexact 0
		.amdhsa_exception_int_div_zero 0
	.end_amdhsa_kernel
	.text
.Lfunc_end0:
	.size	bluestein_single_fwd_len3888_dim1_half_op_CI_CI, .Lfunc_end0-bluestein_single_fwd_len3888_dim1_half_op_CI_CI
                                        ; -- End function
	.section	.AMDGPU.csdata,"",@progbits
; Kernel info:
; codeLenInByte = 25324
; NumSgprs: 20
; NumVgprs: 119
; ScratchSize: 0
; MemoryBound: 0
; FloatMode: 240
; IeeeMode: 1
; LDSByteSize: 15552 bytes/workgroup (compile time only)
; SGPRBlocks: 2
; VGPRBlocks: 14
; NumSGPRsForWavesPerEU: 20
; NumVGPRsForWavesPerEU: 119
; Occupancy: 8
; WaveLimiterHint : 1
; COMPUTE_PGM_RSRC2:SCRATCH_EN: 0
; COMPUTE_PGM_RSRC2:USER_SGPR: 6
; COMPUTE_PGM_RSRC2:TRAP_HANDLER: 0
; COMPUTE_PGM_RSRC2:TGID_X_EN: 1
; COMPUTE_PGM_RSRC2:TGID_Y_EN: 0
; COMPUTE_PGM_RSRC2:TGID_Z_EN: 0
; COMPUTE_PGM_RSRC2:TIDIG_COMP_CNT: 0
	.text
	.p2alignl 6, 3214868480
	.fill 48, 4, 3214868480
	.type	__hip_cuid_7f0c45d7de854255,@object ; @__hip_cuid_7f0c45d7de854255
	.section	.bss,"aw",@nobits
	.globl	__hip_cuid_7f0c45d7de854255
__hip_cuid_7f0c45d7de854255:
	.byte	0                               ; 0x0
	.size	__hip_cuid_7f0c45d7de854255, 1

	.ident	"AMD clang version 19.0.0git (https://github.com/RadeonOpenCompute/llvm-project roc-6.4.0 25133 c7fe45cf4b819c5991fe208aaa96edf142730f1d)"
	.section	".note.GNU-stack","",@progbits
	.addrsig
	.addrsig_sym __hip_cuid_7f0c45d7de854255
	.amdgpu_metadata
---
amdhsa.kernels:
  - .args:
      - .actual_access:  read_only
        .address_space:  global
        .offset:         0
        .size:           8
        .value_kind:     global_buffer
      - .actual_access:  read_only
        .address_space:  global
        .offset:         8
        .size:           8
        .value_kind:     global_buffer
      - .actual_access:  read_only
        .address_space:  global
        .offset:         16
        .size:           8
        .value_kind:     global_buffer
      - .actual_access:  read_only
        .address_space:  global
        .offset:         24
        .size:           8
        .value_kind:     global_buffer
      - .actual_access:  read_only
        .address_space:  global
        .offset:         32
        .size:           8
        .value_kind:     global_buffer
      - .offset:         40
        .size:           8
        .value_kind:     by_value
      - .address_space:  global
        .offset:         48
        .size:           8
        .value_kind:     global_buffer
      - .address_space:  global
        .offset:         56
        .size:           8
        .value_kind:     global_buffer
      - .address_space:  global
        .offset:         64
        .size:           8
        .value_kind:     global_buffer
      - .address_space:  global
        .offset:         72
        .size:           8
        .value_kind:     global_buffer
      - .offset:         80
        .size:           4
        .value_kind:     by_value
      - .address_space:  global
        .offset:         88
        .size:           8
        .value_kind:     global_buffer
      - .address_space:  global
        .offset:         96
        .size:           8
        .value_kind:     global_buffer
    .group_segment_fixed_size: 15552
    .kernarg_segment_align: 8
    .kernarg_segment_size: 104
    .language:       OpenCL C
    .language_version:
      - 2
      - 0
    .max_flat_workgroup_size: 324
    .name:           bluestein_single_fwd_len3888_dim1_half_op_CI_CI
    .private_segment_fixed_size: 0
    .sgpr_count:     20
    .sgpr_spill_count: 0
    .symbol:         bluestein_single_fwd_len3888_dim1_half_op_CI_CI.kd
    .uniform_work_group_size: 1
    .uses_dynamic_stack: false
    .vgpr_count:     119
    .vgpr_spill_count: 0
    .wavefront_size: 32
    .workgroup_processor_mode: 1
amdhsa.target:   amdgcn-amd-amdhsa--gfx1030
amdhsa.version:
  - 1
  - 2
...

	.end_amdgpu_metadata
